;; amdgpu-corpus repo=ROCm/rocFFT kind=compiled arch=gfx906 opt=O3
	.text
	.amdgcn_target "amdgcn-amd-amdhsa--gfx906"
	.amdhsa_code_object_version 6
	.protected	bluestein_single_fwd_len1156_dim1_dp_op_CI_CI ; -- Begin function bluestein_single_fwd_len1156_dim1_dp_op_CI_CI
	.globl	bluestein_single_fwd_len1156_dim1_dp_op_CI_CI
	.p2align	8
	.type	bluestein_single_fwd_len1156_dim1_dp_op_CI_CI,@function
bluestein_single_fwd_len1156_dim1_dp_op_CI_CI: ; @bluestein_single_fwd_len1156_dim1_dp_op_CI_CI
; %bb.0:
	s_mov_b64 s[62:63], s[2:3]
	v_mul_u32_u24_e32 v1, 0x3c4, v0
	s_mov_b64 s[60:61], s[0:1]
	s_load_dwordx4 s[0:3], s[4:5], 0x28
	v_lshrrev_b32_e32 v1, 16, v1
	s_add_u32 s60, s60, s7
	v_mad_u64_u32 v[20:21], s[6:7], s6, 3, v[1:2]
	v_mov_b32_e32 v21, 0
	s_addc_u32 s61, s61, 0
	s_waitcnt lgkmcnt(0)
	v_cmp_gt_u64_e32 vcc, s[0:1], v[20:21]
	s_and_saveexec_b64 s[0:1], vcc
	s_cbranch_execz .LBB0_18
; %bb.1:
	s_load_dwordx4 s[8:11], s[4:5], 0x18
	s_load_dwordx4 s[12:15], s[4:5], 0x0
	v_mul_lo_u16_e32 v1, 0x44, v1
	v_sub_u16_e32 v43, v0, v1
	v_lshlrev_b32_e32 v48, 4, v43
	s_waitcnt lgkmcnt(0)
	s_load_dwordx4 s[16:19], s[8:9], 0x0
	s_mov_b32 s28, 0x5d8e7cdc
	s_mov_b32 s29, 0xbfd71e95
	;; [unrolled: 1-line block ×4, first 2 shown]
	s_waitcnt lgkmcnt(0)
	v_mad_u64_u32 v[0:1], s[0:1], s18, v20, 0
	v_mad_u64_u32 v[2:3], s[0:1], s16, v43, 0
	s_mul_hi_u32 s6, s16, 0x440
	s_mov_b32 s23, 0x3fedd6d0
	v_mad_u64_u32 v[4:5], s[0:1], s19, v20, v[1:2]
	s_mov_b32 s35, 0xbfe0d888
	s_mov_b32 s44, 0x2a9d6da3
	v_mad_u64_u32 v[5:6], s[0:1], s17, v43, v[3:4]
	v_mov_b32_e32 v1, v4
	v_lshlrev_b64 v[0:1], 4, v[0:1]
	v_mov_b32_e32 v3, v5
	v_mov_b32_e32 v6, s3
	v_lshlrev_b64 v[2:3], 4, v[2:3]
	v_add_co_u32_e32 v0, vcc, s2, v0
	v_addc_co_u32_e32 v1, vcc, v6, v1, vcc
	v_add_co_u32_e32 v4, vcc, v0, v2
	v_addc_co_u32_e32 v5, vcc, v1, v3, vcc
	global_load_dwordx4 v[52:55], v48, s[12:13]
	global_load_dwordx4 v[0:3], v[4:5], off
	v_mov_b32_e32 v6, s13
	v_add_co_u32_e64 v47, s[2:3], s12, v48
	s_movk_i32 s0, 0x1000
	s_movk_i32 s1, 0x2000
	v_addc_co_u32_e64 v46, vcc, 0, v6, s[2:3]
	v_add_co_u32_e32 v6, vcc, s0, v47
	v_add_co_u32_e64 v41, s[0:1], s1, v47
	v_addc_co_u32_e32 v7, vcc, 0, v46, vcc
	v_addc_co_u32_e64 v42, vcc, 0, v46, s[0:1]
	s_mul_i32 s1, s17, 0x440
	s_mul_i32 s0, s16, 0x440
	s_add_i32 s1, s6, s1
	global_load_dwordx4 v[152:155], v48, s[12:13] offset:1088
	global_load_dwordx4 v[148:151], v48, s[12:13] offset:2176
	;; [unrolled: 1-line block ×3, first 2 shown]
	global_load_dwordx4 v[144:147], v[6:7], off offset:256
	global_load_dwordx4 v[136:139], v[6:7], off offset:1344
	;; [unrolled: 1-line block ×4, first 2 shown]
	v_mov_b32_e32 v6, s1
	v_add_co_u32_e32 v7, vcc, s0, v4
	v_addc_co_u32_e32 v8, vcc, v5, v6, vcc
	v_mov_b32_e32 v10, s1
	v_add_co_u32_e32 v9, vcc, s0, v7
	v_addc_co_u32_e32 v10, vcc, v8, v10, vcc
	;; [unrolled: 3-line block ×9, first 2 shown]
	global_load_dwordx4 v[4:7], v[7:8], off
	v_mov_b32_e32 v51, s1
	global_load_dwordx4 v[12:15], v[15:16], off
	s_movk_i32 s6, 0x3000
	global_load_dwordx4 v[8:11], v[9:10], off
	s_mov_b32 s50, 0x7c9e640b
	global_load_dwordx4 v[16:19], v[21:22], off
	s_mov_b32 s40, 0xeb564b22
	;; [unrolled: 2-line block ×5, first 2 shown]
	global_load_dwordx4 v[33:36], v[37:38], off
	s_nop 0
	global_load_dwordx4 v[37:40], v[49:50], off
	global_load_dwordx4 v[132:135], v[41:42], off offset:512
	global_load_dwordx4 v[108:111], v[41:42], off offset:1600
	v_add_co_u32_e32 v49, vcc, s0, v49
	v_addc_co_u32_e32 v50, vcc, v50, v51, vcc
	global_load_dwordx4 v[68:71], v[49:50], off
	v_add_co_u32_e32 v49, vcc, s0, v49
	v_addc_co_u32_e32 v50, vcc, v50, v51, vcc
	global_load_dwordx4 v[72:75], v[49:50], off
	global_load_dwordx4 v[124:127], v[41:42], off offset:2688
	global_load_dwordx4 v[64:67], v[41:42], off offset:3776
	v_mov_b32_e32 v42, s1
	v_add_co_u32_e32 v41, vcc, s0, v49
	v_addc_co_u32_e32 v42, vcc, v50, v42, vcc
	v_add_co_u32_e32 v49, vcc, s6, v47
	v_addc_co_u32_e32 v50, vcc, 0, v46, vcc
	global_load_dwordx4 v[76:79], v[41:42], off
	v_add_co_u32_e32 v41, vcc, s0, v41
	v_addc_co_u32_e32 v42, vcc, v42, v51, vcc
	s_waitcnt vmcnt(23)
	v_mul_f64 v[44:45], v[2:3], v[54:55]
	global_load_dwordx4 v[80:83], v[41:42], off
	global_load_dwordx4 v[128:131], v[49:50], off offset:768
	global_load_dwordx4 v[104:107], v[49:50], off offset:1856
	v_add_co_u32_e32 v41, vcc, s0, v41
	v_addc_co_u32_e32 v42, vcc, v42, v51, vcc
	global_load_dwordx4 v[84:87], v[41:42], off
	v_add_co_u32_e32 v41, vcc, s0, v41
	v_addc_co_u32_e32 v42, vcc, v42, v51, vcc
	global_load_dwordx4 v[88:91], v[41:42], off
	global_load_dwordx4 v[116:119], v[49:50], off offset:2944
	global_load_dwordx4 v[56:59], v[49:50], off offset:4032
	v_mov_b32_e32 v49, s1
	v_add_co_u32_e32 v41, vcc, s0, v41
	v_addc_co_u32_e32 v42, vcc, v42, v49, vcc
	s_movk_i32 s0, 0x4000
	global_load_dwordx4 v[92:95], v[41:42], off
	v_add_co_u32_e32 v41, vcc, s0, v47
	v_addc_co_u32_e32 v42, vcc, 0, v46, vcc
	global_load_dwordx4 v[112:115], v[41:42], off offset:1024
	v_mul_f64 v[41:42], v[0:1], v[54:55]
	v_fma_f64 v[0:1], v[0:1], v[52:53], v[44:45]
	buffer_store_dword v52, off, s[60:63], 0 ; 4-byte Folded Spill
	s_nop 0
	buffer_store_dword v53, off, s[60:63], 0 offset:4 ; 4-byte Folded Spill
	buffer_store_dword v54, off, s[60:63], 0 offset:8 ; 4-byte Folded Spill
	;; [unrolled: 1-line block ×3, first 2 shown]
	s_mov_b32 s0, 0xaaaaaaab
	v_mul_hi_u32 v46, v20, s0
	s_load_dwordx4 s[8:11], s[10:11], 0x0
	s_mov_b32 s36, 0xacd6c6b4
	s_mov_b32 s45, 0xbfe58eea
	;; [unrolled: 1-line block ×12, first 2 shown]
	s_waitcnt vmcnt(27)
	v_mul_f64 v[96:97], v[14:15], v[142:143]
	v_mul_f64 v[98:99], v[12:13], v[142:143]
	s_waitcnt vmcnt(26)
	v_mul_f64 v[49:50], v[8:9], v[150:151]
	s_mov_b32 s24, 0x6ed5f1bb
	s_waitcnt vmcnt(25)
	v_mul_f64 v[100:101], v[18:19], v[146:147]
	v_mul_f64 v[102:103], v[16:17], v[146:147]
	s_mov_b32 s38, 0x7faef3
	s_mov_b32 s17, 0x3fe7a5f6
	;; [unrolled: 1-line block ×19, first 2 shown]
	s_load_dwordx2 s[4:5], s[4:5], 0x38
	v_fma_f64 v[2:3], v[2:3], v[52:53], -v[41:42]
	v_lshrrev_b32_e32 v41, 1, v46
	v_lshl_add_u32 v41, v41, 1, v41
	v_sub_u32_e32 v41, v20, v41
	v_mul_u32_u24_e32 v41, 0x484, v41
	v_lshlrev_b32_e32 v45, 4, v41
	v_add_u32_e32 v44, v48, v45
	v_mul_f64 v[41:42], v[10:11], v[150:151]
	ds_write_b128 v44, v[0:3]
	v_mul_f64 v[0:1], v[6:7], v[154:155]
	v_mul_f64 v[2:3], v[4:5], v[154:155]
	v_fma_f64 v[0:1], v[4:5], v[152:153], v[0:1]
	buffer_store_dword v152, off, s[60:63], 0 offset:256 ; 4-byte Folded Spill
	s_nop 0
	buffer_store_dword v153, off, s[60:63], 0 offset:260 ; 4-byte Folded Spill
	buffer_store_dword v154, off, s[60:63], 0 offset:264 ; 4-byte Folded Spill
	buffer_store_dword v155, off, s[60:63], 0 offset:268 ; 4-byte Folded Spill
	v_fma_f64 v[4:5], v[8:9], v[148:149], v[41:42]
	buffer_store_dword v148, off, s[60:63], 0 offset:240 ; 4-byte Folded Spill
	s_nop 0
	buffer_store_dword v149, off, s[60:63], 0 offset:244 ; 4-byte Folded Spill
	buffer_store_dword v150, off, s[60:63], 0 offset:248 ; 4-byte Folded Spill
	buffer_store_dword v151, off, s[60:63], 0 offset:252 ; 4-byte Folded Spill
	;; [unrolled: 6-line block ×4, first 2 shown]
	s_waitcnt vmcnt(40)
	v_mul_f64 v[16:17], v[23:24], v[138:139]
	s_waitcnt vmcnt(39)
	v_mul_f64 v[41:42], v[27:28], v[122:123]
	s_waitcnt vmcnt(38)
	v_mul_f64 v[96:97], v[31:32], v[62:63]
	s_waitcnt vmcnt(35)
	v_mul_f64 v[100:101], v[35:36], v[134:135]
	v_fma_f64 v[16:17], v[21:22], v[136:137], v[16:17]
	v_fma_f64 v[2:3], v[6:7], v[152:153], -v[2:3]
	v_fma_f64 v[6:7], v[10:11], v[148:149], -v[49:50]
	v_mul_f64 v[49:50], v[25:26], v[122:123]
	v_fma_f64 v[10:11], v[14:15], v[140:141], -v[98:99]
	v_mul_f64 v[98:99], v[29:30], v[62:63]
	;; [unrolled: 2-line block ×3, first 2 shown]
	buffer_store_dword v136, off, s[60:63], 0 offset:192 ; 4-byte Folded Spill
	s_nop 0
	buffer_store_dword v137, off, s[60:63], 0 offset:196 ; 4-byte Folded Spill
	buffer_store_dword v138, off, s[60:63], 0 offset:200 ; 4-byte Folded Spill
	;; [unrolled: 1-line block ×3, first 2 shown]
	v_fma_f64 v[21:22], v[25:26], v[120:121], v[41:42]
	buffer_store_dword v120, off, s[60:63], 0 offset:128 ; 4-byte Folded Spill
	s_nop 0
	buffer_store_dword v121, off, s[60:63], 0 offset:132 ; 4-byte Folded Spill
	buffer_store_dword v122, off, s[60:63], 0 offset:136 ; 4-byte Folded Spill
	;; [unrolled: 1-line block ×3, first 2 shown]
	v_fma_f64 v[25:26], v[29:30], v[60:61], v[96:97]
	buffer_store_dword v60, off, s[60:63], 0 offset:32 ; 4-byte Folded Spill
	s_nop 0
	buffer_store_dword v61, off, s[60:63], 0 offset:36 ; 4-byte Folded Spill
	buffer_store_dword v62, off, s[60:63], 0 offset:40 ; 4-byte Folded Spill
	buffer_store_dword v63, off, s[60:63], 0 offset:44 ; 4-byte Folded Spill
	v_mul_f64 v[102:103], v[33:34], v[134:135]
	v_fma_f64 v[29:30], v[33:34], v[132:133], v[100:101]
	buffer_store_dword v132, off, s[60:63], 0 offset:176 ; 4-byte Folded Spill
	s_nop 0
	buffer_store_dword v133, off, s[60:63], 0 offset:180 ; 4-byte Folded Spill
	buffer_store_dword v134, off, s[60:63], 0 offset:184 ; 4-byte Folded Spill
	buffer_store_dword v135, off, s[60:63], 0 offset:188 ; 4-byte Folded Spill
	v_fma_f64 v[18:19], v[23:24], v[136:137], -v[18:19]
	v_fma_f64 v[23:24], v[27:28], v[120:121], -v[49:50]
	;; [unrolled: 1-line block ×4, first 2 shown]
	ds_write_b128 v44, v[0:3] offset:1088
	ds_write_b128 v44, v[4:7] offset:2176
	ds_write_b128 v44, v[8:11] offset:3264
	ds_write_b128 v44, v[12:15] offset:4352
	ds_write_b128 v44, v[16:19] offset:5440
	ds_write_b128 v44, v[21:24] offset:6528
	ds_write_b128 v44, v[25:28] offset:7616
	ds_write_b128 v44, v[29:32] offset:8704
	s_waitcnt vmcnt(50)
	v_mul_f64 v[0:1], v[39:40], v[110:111]
	s_waitcnt vmcnt(47)
	v_mul_f64 v[4:5], v[70:71], v[126:127]
	;; [unrolled: 2-line block ×8, first 2 shown]
	v_mul_f64 v[2:3], v[37:38], v[110:111]
	v_fma_f64 v[0:1], v[37:38], v[108:109], v[0:1]
	buffer_store_dword v108, off, s[60:63], 0 offset:80 ; 4-byte Folded Spill
	s_nop 0
	buffer_store_dword v109, off, s[60:63], 0 offset:84 ; 4-byte Folded Spill
	buffer_store_dword v110, off, s[60:63], 0 offset:88 ; 4-byte Folded Spill
	buffer_store_dword v111, off, s[60:63], 0 offset:92 ; 4-byte Folded Spill
	v_mul_f64 v[6:7], v[68:69], v[126:127]
	v_fma_f64 v[4:5], v[68:69], v[124:125], v[4:5]
	buffer_store_dword v124, off, s[60:63], 0 offset:144 ; 4-byte Folded Spill
	s_nop 0
	buffer_store_dword v125, off, s[60:63], 0 offset:148 ; 4-byte Folded Spill
	buffer_store_dword v126, off, s[60:63], 0 offset:152 ; 4-byte Folded Spill
	buffer_store_dword v127, off, s[60:63], 0 offset:156 ; 4-byte Folded Spill
	;; [unrolled: 7-line block ×8, first 2 shown]
	v_fma_f64 v[2:3], v[39:40], v[108:109], -v[2:3]
	v_fma_f64 v[6:7], v[70:71], v[124:125], -v[6:7]
	;; [unrolled: 1-line block ×8, first 2 shown]
	ds_write_b128 v44, v[0:3] offset:9792
	ds_write_b128 v44, v[4:7] offset:10880
	;; [unrolled: 1-line block ×8, first 2 shown]
	s_waitcnt vmcnt(0) lgkmcnt(0)
	s_barrier
	ds_read_b128 v[12:15], v44
	ds_read_b128 v[16:19], v44 offset:1088
	ds_read_b128 v[21:24], v44 offset:2176
	ds_read_b128 v[25:28], v44 offset:3264
	ds_read_b128 v[4:7], v44 offset:4352
	ds_read_b128 v[92:95], v44 offset:5440
	s_waitcnt lgkmcnt(4)
	v_add_f64 v[0:1], v[12:13], v[16:17]
	v_add_f64 v[2:3], v[14:15], v[18:19]
	ds_read_b128 v[84:87], v44 offset:6528
	ds_read_b128 v[80:83], v44 offset:7616
	;; [unrolled: 1-line block ×6, first 2 shown]
	s_waitcnt lgkmcnt(9)
	v_add_f64 v[0:1], v[0:1], v[21:22]
	v_add_f64 v[2:3], v[2:3], v[23:24]
	s_waitcnt lgkmcnt(8)
	v_add_f64 v[0:1], v[0:1], v[25:26]
	v_add_f64 v[2:3], v[2:3], v[27:28]
	s_waitcnt lgkmcnt(7)
	v_add_f64 v[0:1], v[0:1], v[4:5]
	v_add_f64 v[2:3], v[2:3], v[6:7]
	s_waitcnt lgkmcnt(6)
	v_add_f64 v[0:1], v[0:1], v[92:93]
	v_add_f64 v[2:3], v[2:3], v[94:95]
	s_waitcnt lgkmcnt(5)
	v_add_f64 v[0:1], v[0:1], v[84:85]
	v_add_f64 v[2:3], v[2:3], v[86:87]
	s_waitcnt lgkmcnt(4)
	v_add_f64 v[0:1], v[0:1], v[80:81]
	v_add_f64 v[2:3], v[2:3], v[82:83]
	s_waitcnt lgkmcnt(3)
	v_add_f64 v[0:1], v[0:1], v[72:73]
	v_add_f64 v[2:3], v[2:3], v[74:75]
	s_waitcnt lgkmcnt(2)
	v_add_f64 v[8:9], v[0:1], v[76:77]
	v_add_f64 v[10:11], v[2:3], v[78:79]
	ds_read_b128 v[0:3], v44 offset:10880
	s_waitcnt lgkmcnt(0)
	v_add_f64 v[8:9], v[8:9], v[0:1]
	v_add_f64 v[10:11], v[10:11], v[2:3]
	;; [unrolled: 1-line block ×6, first 2 shown]
	ds_read_b128 v[8:11], v44 offset:14144
	ds_read_b128 v[29:32], v44 offset:17408
	s_waitcnt lgkmcnt(0)
	v_add_f64 v[100:101], v[18:19], -v[31:32]
	v_add_f64 v[41:42], v[33:34], v[8:9]
	v_add_f64 v[49:50], v[35:36], v[10:11]
	v_add_f64 v[102:103], v[16:17], -v[29:30]
	ds_read_b128 v[33:36], v44 offset:15232
	ds_read_b128 v[37:40], v44 offset:16320
	v_add_f64 v[16:17], v[16:17], v[29:30]
	v_add_f64 v[18:19], v[18:19], v[31:32]
	s_waitcnt lgkmcnt(0)
	v_mul_f64 v[104:105], v[100:101], s[28:29]
	v_add_f64 v[41:42], v[41:42], v[33:34]
	v_add_f64 v[49:50], v[49:50], v[35:36]
	v_mul_f64 v[106:107], v[102:103], s[28:29]
	v_mul_f64 v[140:141], v[100:101], s[34:35]
	v_add_f64 v[152:153], v[23:24], -v[39:40]
	v_mul_f64 v[142:143], v[102:103], s[34:35]
	v_add_f64 v[154:155], v[21:22], -v[37:38]
	v_fma_f64 v[108:109], v[16:17], s[22:23], -v[104:105]
	v_add_f64 v[41:42], v[41:42], v[37:38]
	v_add_f64 v[49:50], v[49:50], v[39:40]
	v_fma_f64 v[110:111], v[18:19], s[22:23], v[106:107]
	v_mul_f64 v[120:121], v[100:101], s[40:41]
	v_mul_f64 v[124:125], v[100:101], s[20:21]
	;; [unrolled: 1-line block ×3, first 2 shown]
	v_fma_f64 v[148:149], v[16:17], s[30:31], -v[140:141]
	v_fma_f64 v[140:141], v[16:17], s[30:31], v[140:141]
	v_add_f64 v[68:69], v[41:42], v[29:30]
	v_add_f64 v[29:30], v[12:13], v[108:109]
	v_fma_f64 v[41:42], v[16:17], s[22:23], v[104:105]
	v_mul_f64 v[104:105], v[100:101], s[44:45]
	v_mul_f64 v[108:109], v[100:101], s[50:51]
	;; [unrolled: 1-line block ×3, first 2 shown]
	v_add_f64 v[21:22], v[21:22], v[37:38]
	v_mul_f64 v[37:38], v[152:153], s[44:45]
	v_add_f64 v[70:71], v[49:50], v[31:32]
	v_add_f64 v[31:32], v[14:15], v[110:111]
	v_fma_f64 v[49:50], v[18:19], s[22:23], -v[106:107]
	v_mul_f64 v[106:107], v[102:103], s[44:45]
	v_mul_f64 v[110:111], v[102:103], s[50:51]
	;; [unrolled: 1-line block ×5, first 2 shown]
	v_fma_f64 v[150:151], v[18:19], s[30:31], v[142:143]
	v_fma_f64 v[142:143], v[18:19], s[30:31], -v[142:143]
	v_mul_f64 v[102:103], v[102:103], s[36:37]
	v_add_f64 v[23:24], v[23:24], v[39:40]
	v_mul_f64 v[39:40], v[154:155], s[44:45]
	v_fma_f64 v[112:113], v[16:17], s[16:17], -v[104:105]
	v_fma_f64 v[104:105], v[16:17], s[16:17], v[104:105]
	v_fma_f64 v[116:117], v[16:17], s[6:7], -v[108:109]
	v_fma_f64 v[108:109], v[16:17], s[6:7], v[108:109]
	;; [unrolled: 2-line block ×6, first 2 shown]
	v_add_f64 v[100:101], v[12:13], v[140:141]
	v_fma_f64 v[140:141], v[21:22], s[16:17], -v[37:38]
	v_fma_f64 v[114:115], v[18:19], s[16:17], v[106:107]
	v_fma_f64 v[106:107], v[18:19], s[16:17], -v[106:107]
	v_fma_f64 v[118:119], v[18:19], s[6:7], v[110:111]
	;; [unrolled: 2-line block ×6, first 2 shown]
	v_fma_f64 v[18:19], v[18:19], s[38:39], -v[102:103]
	v_add_f64 v[102:103], v[14:15], v[142:143]
	v_fma_f64 v[142:143], v[23:24], s[16:17], v[39:40]
	v_add_f64 v[41:42], v[12:13], v[41:42]
	v_add_f64 v[112:113], v[12:13], v[112:113]
	;; [unrolled: 1-line block ×14, first 2 shown]
	v_mul_f64 v[16:17], v[152:153], s[40:41]
	v_add_f64 v[29:30], v[140:141], v[29:30]
	v_mul_f64 v[140:141], v[152:153], s[26:27]
	v_add_f64 v[49:50], v[14:15], v[49:50]
	v_add_f64 v[114:115], v[14:15], v[114:115]
	;; [unrolled: 1-line block ×14, first 2 shown]
	v_mul_f64 v[18:19], v[154:155], s[40:41]
	v_add_f64 v[31:32], v[142:143], v[31:32]
	v_mul_f64 v[142:143], v[154:155], s[26:27]
	v_fma_f64 v[37:38], v[21:22], s[16:17], v[37:38]
	v_fma_f64 v[160:161], v[21:22], s[0:1], -v[16:17]
	v_fma_f64 v[16:17], v[21:22], s[0:1], v[16:17]
	v_fma_f64 v[164:165], v[21:22], s[24:25], -v[140:141]
	v_fma_f64 v[39:40], v[23:24], s[16:17], -v[39:40]
	v_fma_f64 v[162:163], v[23:24], s[0:1], v[18:19]
	v_fma_f64 v[18:19], v[23:24], s[0:1], -v[18:19]
	v_fma_f64 v[166:167], v[23:24], s[24:25], v[142:143]
	v_add_f64 v[37:38], v[37:38], v[41:42]
	v_add_f64 v[41:42], v[160:161], v[112:113]
	;; [unrolled: 1-line block ×4, first 2 shown]
	v_mul_f64 v[112:113], v[152:153], s[36:37]
	v_mul_f64 v[116:117], v[152:153], s[54:55]
	v_add_f64 v[39:40], v[39:40], v[49:50]
	v_add_f64 v[49:50], v[162:163], v[114:115]
	;; [unrolled: 1-line block ×4, first 2 shown]
	v_mul_f64 v[114:115], v[154:155], s[36:37]
	v_mul_f64 v[118:119], v[154:155], s[54:55]
	v_fma_f64 v[160:161], v[21:22], s[38:39], -v[112:113]
	v_fma_f64 v[112:113], v[21:22], s[38:39], v[112:113]
	v_fma_f64 v[164:165], v[21:22], s[30:31], -v[116:117]
	v_fma_f64 v[140:141], v[21:22], s[24:25], v[140:141]
	;; [unrolled: 2-line block ×3, first 2 shown]
	v_fma_f64 v[162:163], v[23:24], s[38:39], v[114:115]
	v_fma_f64 v[114:115], v[23:24], s[38:39], -v[114:115]
	v_fma_f64 v[166:167], v[23:24], s[30:31], v[118:119]
	v_add_f64 v[112:113], v[112:113], v[120:121]
	v_add_f64 v[120:121], v[164:165], v[132:133]
	v_mul_f64 v[132:133], v[152:153], s[52:53]
	v_add_f64 v[108:109], v[140:141], v[108:109]
	v_add_f64 v[128:129], v[160:161], v[128:129]
	v_mul_f64 v[140:141], v[152:153], s[42:43]
	;; [unrolled: 3-line block ×3, first 2 shown]
	v_add_f64 v[110:111], v[142:143], v[110:111]
	v_fma_f64 v[160:161], v[21:22], s[18:19], -v[132:133]
	v_add_f64 v[130:131], v[162:163], v[130:131]
	v_mul_f64 v[142:143], v[154:155], s[42:43]
	v_fma_f64 v[118:119], v[23:24], s[30:31], -v[118:119]
	v_fma_f64 v[132:133], v[21:22], s[18:19], v[132:133]
	v_fma_f64 v[164:165], v[21:22], s[6:7], -v[140:141]
	v_fma_f64 v[162:163], v[23:24], s[18:19], v[134:135]
	v_add_f64 v[116:117], v[116:117], v[124:125]
	v_add_f64 v[124:125], v[160:161], v[144:145]
	v_add_f64 v[144:145], v[27:28], -v[35:36]
	v_fma_f64 v[134:135], v[23:24], s[18:19], -v[134:135]
	v_fma_f64 v[166:167], v[23:24], s[6:7], v[142:143]
	v_add_f64 v[118:119], v[118:119], v[126:127]
	v_add_f64 v[132:133], v[132:133], v[136:137]
	;; [unrolled: 1-line block ×3, first 2 shown]
	v_add_f64 v[146:147], v[25:26], -v[33:34]
	v_add_f64 v[136:137], v[164:165], v[148:149]
	v_mul_f64 v[148:149], v[152:153], s[46:47]
	v_add_f64 v[25:26], v[25:26], v[33:34]
	v_mul_f64 v[33:34], v[144:145], s[50:51]
	v_add_f64 v[134:135], v[134:135], v[138:139]
	v_add_f64 v[138:139], v[166:167], v[150:151]
	v_mul_f64 v[150:151], v[154:155], s[46:47]
	v_add_f64 v[27:28], v[27:28], v[35:36]
	v_mul_f64 v[35:36], v[146:147], s[50:51]
	v_fma_f64 v[140:141], v[21:22], s[6:7], v[140:141]
	v_fma_f64 v[152:153], v[21:22], s[22:23], -v[148:149]
	v_fma_f64 v[21:22], v[21:22], s[22:23], v[148:149]
	v_fma_f64 v[148:149], v[25:26], s[6:7], -v[33:34]
	v_fma_f64 v[142:143], v[23:24], s[6:7], -v[142:143]
	v_fma_f64 v[154:155], v[23:24], s[22:23], v[150:151]
	v_fma_f64 v[23:24], v[23:24], s[22:23], -v[150:151]
	v_fma_f64 v[150:151], v[27:28], s[6:7], v[35:36]
	v_add_f64 v[100:101], v[140:141], v[100:101]
	v_add_f64 v[140:141], v[152:153], v[156:157]
	;; [unrolled: 1-line block ×4, first 2 shown]
	v_mul_f64 v[29:30], v[144:145], s[26:27]
	v_mul_f64 v[148:149], v[144:145], s[48:49]
	v_add_f64 v[14:15], v[23:24], v[14:15]
	v_add_f64 v[23:24], v[150:151], v[31:32]
	v_mul_f64 v[31:32], v[146:147], s[26:27]
	v_mul_f64 v[150:151], v[146:147], s[48:49]
	v_fma_f64 v[33:34], v[25:26], s[6:7], v[33:34]
	v_add_f64 v[102:103], v[142:143], v[102:103]
	v_fma_f64 v[152:153], v[25:26], s[24:25], -v[29:30]
	v_fma_f64 v[29:30], v[25:26], s[24:25], v[29:30]
	v_fma_f64 v[156:157], v[25:26], s[38:39], -v[148:149]
	v_add_f64 v[142:143], v[154:155], v[158:159]
	v_fma_f64 v[35:36], v[27:28], s[6:7], -v[35:36]
	v_fma_f64 v[154:155], v[27:28], s[24:25], v[31:32]
	v_fma_f64 v[31:32], v[27:28], s[24:25], -v[31:32]
	v_fma_f64 v[158:159], v[27:28], s[38:39], v[150:151]
	s_mov_b32 s49, 0x3fe58eea
	s_mov_b32 s48, s44
	v_add_f64 v[33:34], v[33:34], v[37:38]
	v_add_f64 v[37:38], v[152:153], v[41:42]
	;; [unrolled: 1-line block ×4, first 2 shown]
	v_mul_f64 v[41:42], v[144:145], s[52:53]
	v_fma_f64 v[104:105], v[25:26], s[38:39], v[148:149]
	v_mul_f64 v[148:149], v[144:145], s[48:49]
	v_add_f64 v[35:36], v[35:36], v[39:40]
	v_add_f64 v[39:40], v[154:155], v[49:50]
	;; [unrolled: 1-line block ×4, first 2 shown]
	v_mul_f64 v[49:50], v[146:147], s[52:53]
	v_fma_f64 v[106:107], v[27:28], s[38:39], -v[150:151]
	v_mul_f64 v[150:151], v[146:147], s[48:49]
	v_fma_f64 v[152:153], v[25:26], s[18:19], -v[41:42]
	v_fma_f64 v[41:42], v[25:26], s[18:19], v[41:42]
	v_add_f64 v[104:105], v[104:105], v[108:109]
	v_fma_f64 v[108:109], v[25:26], s[16:17], -v[148:149]
	v_fma_f64 v[148:149], v[25:26], s[16:17], v[148:149]
	v_fma_f64 v[154:155], v[27:28], s[18:19], v[49:50]
	v_fma_f64 v[49:50], v[27:28], s[18:19], -v[49:50]
	v_add_f64 v[106:107], v[106:107], v[110:111]
	v_fma_f64 v[110:111], v[27:28], s[16:17], v[150:151]
	v_add_f64 v[41:42], v[41:42], v[112:113]
	v_mul_f64 v[112:113], v[144:145], s[28:29]
	v_add_f64 v[108:109], v[108:109], v[120:121]
	v_mul_f64 v[120:121], v[144:145], s[40:41]
	v_add_f64 v[128:129], v[152:153], v[128:129]
	v_add_f64 v[49:50], v[49:50], v[114:115]
	v_mul_f64 v[114:115], v[146:147], s[28:29]
	v_add_f64 v[110:111], v[110:111], v[122:123]
	v_mul_f64 v[122:123], v[146:147], s[40:41]
	v_fma_f64 v[152:153], v[25:26], s[22:23], -v[112:113]
	v_fma_f64 v[112:113], v[25:26], s[22:23], v[112:113]
	v_fma_f64 v[156:157], v[25:26], s[0:1], -v[120:121]
	v_add_f64 v[130:131], v[154:155], v[130:131]
	v_mul_f64 v[144:145], v[144:145], s[34:35]
	v_fma_f64 v[154:155], v[27:28], s[22:23], v[114:115]
	v_fma_f64 v[114:115], v[27:28], s[22:23], -v[114:115]
	v_fma_f64 v[158:159], v[27:28], s[0:1], v[122:123]
	v_fma_f64 v[120:121], v[25:26], s[0:1], v[120:121]
	v_add_f64 v[112:113], v[112:113], v[132:133]
	v_add_f64 v[132:133], v[156:157], v[136:137]
	v_add_f64 v[136:137], v[6:7], -v[10:11]
	v_fma_f64 v[150:151], v[27:28], s[16:17], -v[150:151]
	v_mul_f64 v[146:147], v[146:147], s[34:35]
	v_add_f64 v[114:115], v[114:115], v[134:135]
	v_add_f64 v[134:135], v[158:159], v[138:139]
	v_add_f64 v[138:139], v[4:5], -v[8:9]
	v_add_f64 v[4:5], v[4:5], v[8:9]
	v_fma_f64 v[122:123], v[27:28], s[0:1], -v[122:123]
	v_mul_f64 v[8:9], v[136:137], s[40:41]
	v_add_f64 v[6:7], v[6:7], v[10:11]
	v_add_f64 v[116:117], v[148:149], v[116:117]
	v_fma_f64 v[148:149], v[25:26], s[30:31], -v[144:145]
	v_fma_f64 v[25:26], v[25:26], s[30:31], v[144:145]
	v_mul_f64 v[10:11], v[138:139], s[40:41]
	v_add_f64 v[100:101], v[120:121], v[100:101]
	v_add_f64 v[118:119], v[150:151], v[118:119]
	v_fma_f64 v[120:121], v[4:5], s[0:1], -v[8:9]
	v_fma_f64 v[150:151], v[27:28], s[30:31], v[146:147]
	v_fma_f64 v[27:28], v[27:28], s[30:31], -v[146:147]
	v_add_f64 v[102:103], v[122:123], v[102:103]
	v_add_f64 v[12:13], v[25:26], v[12:13]
	v_fma_f64 v[122:123], v[6:7], s[0:1], v[10:11]
	v_mul_f64 v[25:26], v[136:137], s[36:37]
	v_fma_f64 v[8:9], v[4:5], s[0:1], v[8:9]
	v_add_f64 v[21:22], v[120:121], v[21:22]
	v_mul_f64 v[120:121], v[136:137], s[52:53]
	v_add_f64 v[14:15], v[27:28], v[14:15]
	v_mul_f64 v[27:28], v[138:139], s[36:37]
	v_fma_f64 v[10:11], v[6:7], s[0:1], -v[10:11]
	v_add_f64 v[23:24], v[122:123], v[23:24]
	v_mul_f64 v[122:123], v[138:139], s[52:53]
	v_fma_f64 v[144:145], v[4:5], s[38:39], -v[25:26]
	v_fma_f64 v[25:26], v[4:5], s[38:39], v[25:26]
	v_add_f64 v[8:9], v[8:9], v[33:34]
	v_fma_f64 v[33:34], v[4:5], s[18:19], -v[120:121]
	v_fma_f64 v[146:147], v[6:7], s[38:39], v[27:28]
	v_fma_f64 v[27:28], v[6:7], s[38:39], -v[27:28]
	v_add_f64 v[10:11], v[10:11], v[35:36]
	v_fma_f64 v[35:36], v[6:7], s[18:19], v[122:123]
	v_add_f64 v[140:141], v[148:149], v[140:141]
	v_add_f64 v[16:17], v[25:26], v[16:17]
	v_mul_f64 v[25:26], v[136:137], s[46:47]
	v_add_f64 v[29:30], v[33:34], v[29:30]
	v_mul_f64 v[33:34], v[136:137], s[50:51]
	;; [unrolled: 2-line block ×4, first 2 shown]
	v_add_f64 v[37:38], v[144:145], v[37:38]
	v_fma_f64 v[120:121], v[4:5], s[18:19], v[120:121]
	v_fma_f64 v[144:145], v[4:5], s[22:23], -v[25:26]
	v_fma_f64 v[25:26], v[4:5], s[22:23], v[25:26]
	v_fma_f64 v[148:149], v[4:5], s[6:7], -v[33:34]
	v_add_f64 v[142:143], v[150:151], v[142:143]
	v_add_f64 v[39:40], v[146:147], v[39:40]
	v_fma_f64 v[122:123], v[6:7], s[18:19], -v[122:123]
	v_fma_f64 v[146:147], v[6:7], s[22:23], v[27:28]
	v_fma_f64 v[27:28], v[6:7], s[22:23], -v[27:28]
	v_fma_f64 v[150:151], v[6:7], s[6:7], v[35:36]
	v_add_f64 v[104:105], v[120:121], v[104:105]
	v_add_f64 v[120:121], v[144:145], v[128:129]
	;; [unrolled: 1-line block ×4, first 2 shown]
	v_mul_f64 v[108:109], v[136:137], s[34:35]
	v_fma_f64 v[33:34], v[4:5], s[6:7], v[33:34]
	v_mul_f64 v[128:129], v[136:137], s[56:57]
	v_add_f64 v[106:107], v[122:123], v[106:107]
	v_add_f64 v[122:123], v[146:147], v[130:131]
	;; [unrolled: 1-line block ×4, first 2 shown]
	v_mul_f64 v[110:111], v[138:139], s[34:35]
	v_fma_f64 v[35:36], v[6:7], s[6:7], -v[35:36]
	v_mul_f64 v[130:131], v[138:139], s[56:57]
	v_fma_f64 v[144:145], v[4:5], s[30:31], -v[108:109]
	v_fma_f64 v[108:109], v[4:5], s[30:31], v[108:109]
	v_add_f64 v[33:34], v[33:34], v[116:117]
	v_fma_f64 v[116:117], v[4:5], s[24:25], -v[128:129]
	v_fma_f64 v[128:129], v[4:5], s[24:25], v[128:129]
	v_fma_f64 v[146:147], v[6:7], s[30:31], v[110:111]
	v_fma_f64 v[110:111], v[6:7], s[30:31], -v[110:111]
	v_add_f64 v[35:36], v[35:36], v[118:119]
	v_fma_f64 v[118:119], v[6:7], s[24:25], v[130:131]
	v_add_f64 v[108:109], v[108:109], v[112:113]
	v_mul_f64 v[112:113], v[136:137], s[48:49]
	v_add_f64 v[116:117], v[116:117], v[132:133]
	v_add_f64 v[132:133], v[94:95], -v[98:99]
	v_fma_f64 v[130:131], v[6:7], s[24:25], -v[130:131]
	v_add_f64 v[110:111], v[110:111], v[114:115]
	v_mul_f64 v[114:115], v[138:139], s[48:49]
	v_add_f64 v[118:119], v[118:119], v[134:135]
	v_add_f64 v[134:135], v[92:93], -v[96:97]
	v_fma_f64 v[136:137], v[4:5], s[16:17], -v[112:113]
	v_add_f64 v[92:93], v[92:93], v[96:97]
	v_mul_f64 v[96:97], v[132:133], s[20:21]
	v_fma_f64 v[4:5], v[4:5], s[16:17], v[112:113]
	v_add_f64 v[94:95], v[94:95], v[98:99]
	v_fma_f64 v[138:139], v[6:7], s[16:17], v[114:115]
	v_fma_f64 v[6:7], v[6:7], s[16:17], -v[114:115]
	v_mul_f64 v[98:99], v[134:135], s[20:21]
	v_add_f64 v[100:101], v[128:129], v[100:101]
	v_add_f64 v[102:103], v[130:131], v[102:103]
	v_fma_f64 v[128:129], v[92:93], s[18:19], -v[96:97]
	v_add_f64 v[4:5], v[4:5], v[12:13]
	v_mul_f64 v[12:13], v[132:133], s[54:55]
	v_add_f64 v[112:113], v[136:137], v[140:141]
	v_add_f64 v[6:7], v[6:7], v[14:15]
	v_fma_f64 v[130:131], v[94:95], s[18:19], v[98:99]
	v_mul_f64 v[14:15], v[134:135], s[54:55]
	v_fma_f64 v[96:97], v[92:93], s[18:19], v[96:97]
	v_add_f64 v[21:22], v[128:129], v[21:22]
	v_mul_f64 v[128:129], v[132:133], s[48:49]
	v_fma_f64 v[136:137], v[92:93], s[30:31], -v[12:13]
	v_add_f64 v[114:115], v[138:139], v[142:143]
	v_fma_f64 v[98:99], v[94:95], s[18:19], -v[98:99]
	v_add_f64 v[23:24], v[130:131], v[23:24]
	v_mul_f64 v[130:131], v[134:135], s[48:49]
	v_fma_f64 v[138:139], v[94:95], s[30:31], v[14:15]
	v_add_f64 v[8:9], v[96:97], v[8:9]
	v_fma_f64 v[12:13], v[92:93], s[30:31], v[12:13]
	v_fma_f64 v[96:97], v[92:93], s[16:17], -v[128:129]
	v_add_f64 v[37:38], v[136:137], v[37:38]
	v_mul_f64 v[136:137], v[132:133], s[50:51]
	v_add_f64 v[10:11], v[98:99], v[10:11]
	v_fma_f64 v[14:15], v[94:95], s[30:31], -v[14:15]
	v_fma_f64 v[98:99], v[94:95], s[16:17], v[130:131]
	v_add_f64 v[39:40], v[138:139], v[39:40]
	v_mul_f64 v[138:139], v[134:135], s[50:51]
	v_add_f64 v[12:13], v[12:13], v[16:17]
	v_add_f64 v[16:17], v[96:97], v[29:30]
	v_fma_f64 v[96:97], v[92:93], s[6:7], -v[136:137]
	s_mov_b32 s51, 0x3fefdd0d
	v_add_f64 v[14:15], v[14:15], v[18:19]
	v_add_f64 v[18:19], v[98:99], v[31:32]
	s_mov_b32 s50, s40
	v_fma_f64 v[98:99], v[94:95], s[6:7], v[138:139]
	v_fma_f64 v[29:30], v[92:93], s[16:17], v[128:129]
	v_mul_f64 v[128:129], v[132:133], s[36:37]
	v_fma_f64 v[136:137], v[92:93], s[6:7], v[136:137]
	v_add_f64 v[96:97], v[96:97], v[120:121]
	v_mul_f64 v[120:121], v[132:133], s[50:51]
	v_fma_f64 v[31:32], v[94:95], s[16:17], -v[130:131]
	v_mul_f64 v[130:131], v[134:135], s[36:37]
	v_fma_f64 v[138:139], v[94:95], s[6:7], -v[138:139]
	v_add_f64 v[98:99], v[98:99], v[122:123]
	v_mul_f64 v[122:123], v[134:135], s[50:51]
	v_add_f64 v[29:30], v[29:30], v[104:105]
	v_fma_f64 v[104:105], v[92:93], s[38:39], -v[128:129]
	v_add_f64 v[25:26], v[136:137], v[25:26]
	v_fma_f64 v[136:137], v[92:93], s[0:1], -v[120:121]
	v_fma_f64 v[120:121], v[92:93], s[0:1], v[120:121]
	v_add_f64 v[31:32], v[31:32], v[106:107]
	v_fma_f64 v[106:107], v[94:95], s[38:39], v[130:131]
	v_add_f64 v[27:28], v[138:139], v[27:28]
	v_fma_f64 v[138:139], v[94:95], s[0:1], v[122:123]
	v_fma_f64 v[122:123], v[94:95], s[0:1], -v[122:123]
	v_add_f64 v[41:42], v[104:105], v[41:42]
	v_mul_f64 v[104:105], v[132:133], s[28:29]
	v_fma_f64 v[128:129], v[92:93], s[38:39], v[128:129]
	v_add_f64 v[108:109], v[120:121], v[108:109]
	v_add_f64 v[120:121], v[86:87], -v[90:91]
	v_add_f64 v[49:50], v[106:107], v[49:50]
	v_mul_f64 v[106:107], v[134:135], s[28:29]
	v_fma_f64 v[130:131], v[94:95], s[38:39], -v[130:131]
	v_add_f64 v[110:111], v[122:123], v[110:111]
	v_add_f64 v[122:123], v[84:85], -v[88:89]
	v_fma_f64 v[140:141], v[92:93], s[22:23], -v[104:105]
	v_add_f64 v[33:34], v[128:129], v[33:34]
	v_mul_f64 v[128:129], v[132:133], s[26:27]
	v_fma_f64 v[104:105], v[92:93], s[22:23], v[104:105]
	v_add_f64 v[84:85], v[84:85], v[88:89]
	v_mul_f64 v[88:89], v[120:121], s[26:27]
	v_fma_f64 v[142:143], v[94:95], s[22:23], v[106:107]
	v_add_f64 v[35:36], v[130:131], v[35:36]
	v_mul_f64 v[130:131], v[134:135], s[26:27]
	v_fma_f64 v[106:107], v[94:95], s[22:23], -v[106:107]
	v_add_f64 v[86:87], v[86:87], v[90:91]
	v_mul_f64 v[90:91], v[122:123], s[26:27]
	v_fma_f64 v[132:133], v[92:93], s[24:25], -v[128:129]
	v_fma_f64 v[92:93], v[92:93], s[24:25], v[128:129]
	v_add_f64 v[100:101], v[104:105], v[100:101]
	v_fma_f64 v[104:105], v[84:85], s[24:25], -v[88:89]
	v_fma_f64 v[134:135], v[94:95], s[24:25], v[130:131]
	v_fma_f64 v[94:95], v[94:95], s[24:25], -v[130:131]
	v_add_f64 v[102:103], v[106:107], v[102:103]
	v_fma_f64 v[106:107], v[86:87], s[24:25], v[90:91]
	v_fma_f64 v[88:89], v[84:85], s[24:25], v[88:89]
	v_add_f64 v[4:5], v[92:93], v[4:5]
	v_mul_f64 v[92:93], v[120:121], s[52:53]
	v_add_f64 v[21:22], v[104:105], v[21:22]
	v_mul_f64 v[104:105], v[120:121], s[28:29]
	;; [unrolled: 2-line block ×3, first 2 shown]
	v_add_f64 v[23:24], v[106:107], v[23:24]
	v_fma_f64 v[90:91], v[86:87], s[24:25], -v[90:91]
	v_mul_f64 v[106:107], v[122:123], s[28:29]
	v_fma_f64 v[128:129], v[84:85], s[18:19], -v[92:93]
	v_fma_f64 v[92:93], v[84:85], s[18:19], v[92:93]
	v_add_f64 v[8:9], v[88:89], v[8:9]
	v_fma_f64 v[88:89], v[84:85], s[22:23], -v[104:105]
	v_fma_f64 v[130:131], v[86:87], s[18:19], v[94:95]
	v_fma_f64 v[94:95], v[86:87], s[18:19], -v[94:95]
	v_add_f64 v[10:11], v[90:91], v[10:11]
	v_fma_f64 v[90:91], v[86:87], s[22:23], v[106:107]
	v_add_f64 v[37:38], v[128:129], v[37:38]
	v_add_f64 v[12:13], v[92:93], v[12:13]
	v_mul_f64 v[92:93], v[120:121], s[34:35]
	v_add_f64 v[16:17], v[88:89], v[16:17]
	v_fma_f64 v[88:89], v[84:85], s[22:23], v[104:105]
	v_mul_f64 v[104:105], v[120:121], s[50:51]
	v_add_f64 v[14:15], v[94:95], v[14:15]
	v_mul_f64 v[94:95], v[122:123], s[34:35]
	v_add_f64 v[18:19], v[90:91], v[18:19]
	v_fma_f64 v[90:91], v[86:87], s[22:23], -v[106:107]
	v_mul_f64 v[106:107], v[122:123], s[50:51]
	v_fma_f64 v[128:129], v[84:85], s[30:31], -v[92:93]
	v_fma_f64 v[92:93], v[84:85], s[30:31], v[92:93]
	v_add_f64 v[29:30], v[88:89], v[29:30]
	v_fma_f64 v[88:89], v[84:85], s[0:1], -v[104:105]
	v_add_f64 v[39:40], v[130:131], v[39:40]
	v_fma_f64 v[130:131], v[86:87], s[30:31], v[94:95]
	v_fma_f64 v[94:95], v[86:87], s[30:31], -v[94:95]
	v_add_f64 v[31:32], v[90:91], v[31:32]
	v_fma_f64 v[90:91], v[86:87], s[0:1], v[106:107]
	v_add_f64 v[124:125], v[152:153], v[124:125]
	v_add_f64 v[25:26], v[92:93], v[25:26]
	v_mul_f64 v[92:93], v[120:121], s[44:45]
	v_add_f64 v[41:42], v[88:89], v[41:42]
	v_mul_f64 v[88:89], v[120:121], s[36:37]
	v_add_f64 v[126:127], v[154:155], v[126:127]
	v_add_f64 v[27:28], v[94:95], v[27:28]
	v_mul_f64 v[94:95], v[122:123], s[44:45]
	v_add_f64 v[49:50], v[90:91], v[49:50]
	v_mul_f64 v[90:91], v[122:123], s[36:37]
	v_add_f64 v[124:125], v[144:145], v[124:125]
	v_add_f64 v[116:117], v[140:141], v[116:117]
	v_add_f64 v[112:113], v[132:133], v[112:113]
	v_add_f64 v[96:97], v[128:129], v[96:97]
	v_fma_f64 v[128:129], v[84:85], s[16:17], -v[92:93]
	v_fma_f64 v[92:93], v[84:85], s[16:17], v[92:93]
	v_fma_f64 v[132:133], v[84:85], s[38:39], -v[88:89]
	v_add_f64 v[126:127], v[146:147], v[126:127]
	v_add_f64 v[118:119], v[142:143], v[118:119]
	;; [unrolled: 1-line block ×4, first 2 shown]
	v_fma_f64 v[130:131], v[86:87], s[16:17], v[94:95]
	v_fma_f64 v[94:95], v[86:87], s[16:17], -v[94:95]
	v_fma_f64 v[134:135], v[86:87], s[38:39], v[90:91]
	v_add_f64 v[124:125], v[136:137], v[124:125]
	v_fma_f64 v[104:105], v[84:85], s[0:1], v[104:105]
	v_add_f64 v[92:93], v[92:93], v[108:109]
	v_add_f64 v[108:109], v[132:133], v[116:117]
	v_add_f64 v[116:117], v[82:83], -v[2:3]
	v_mul_f64 v[120:121], v[120:121], s[42:43]
	v_add_f64 v[126:127], v[138:139], v[126:127]
	v_fma_f64 v[106:107], v[86:87], s[0:1], -v[106:107]
	v_add_f64 v[94:95], v[94:95], v[110:111]
	v_add_f64 v[110:111], v[134:135], v[118:119]
	v_add_f64 v[118:119], v[80:81], -v[0:1]
	v_mul_f64 v[122:123], v[122:123], s[42:43]
	v_add_f64 v[33:34], v[104:105], v[33:34]
	v_add_f64 v[104:105], v[128:129], v[124:125]
	v_fma_f64 v[88:89], v[84:85], s[38:39], v[88:89]
	v_add_f64 v[0:1], v[80:81], v[0:1]
	v_mul_f64 v[80:81], v[116:117], s[34:35]
	v_fma_f64 v[124:125], v[84:85], s[6:7], -v[120:121]
	v_fma_f64 v[84:85], v[84:85], s[6:7], v[120:121]
	v_add_f64 v[35:36], v[106:107], v[35:36]
	v_add_f64 v[106:107], v[130:131], v[126:127]
	v_fma_f64 v[90:91], v[86:87], s[38:39], -v[90:91]
	v_add_f64 v[2:3], v[82:83], v[2:3]
	v_mul_f64 v[82:83], v[118:119], s[34:35]
	v_fma_f64 v[126:127], v[86:87], s[6:7], v[122:123]
	v_fma_f64 v[86:87], v[86:87], s[6:7], -v[122:123]
	v_add_f64 v[88:89], v[88:89], v[100:101]
	v_fma_f64 v[100:101], v[0:1], s[30:31], -v[80:81]
	v_add_f64 v[4:5], v[84:85], v[4:5]
	v_mul_f64 v[84:85], v[116:117], s[42:43]
	v_add_f64 v[90:91], v[90:91], v[102:103]
	v_fma_f64 v[102:103], v[2:3], s[30:31], v[82:83]
	v_fma_f64 v[80:81], v[0:1], s[30:31], v[80:81]
	v_add_f64 v[6:7], v[86:87], v[6:7]
	v_mul_f64 v[86:87], v[118:119], s[42:43]
	v_add_f64 v[21:22], v[100:101], v[21:22]
	v_mul_f64 v[100:101], v[116:117], s[40:41]
	v_fma_f64 v[120:121], v[0:1], s[6:7], -v[84:85]
	v_fma_f64 v[84:85], v[0:1], s[6:7], v[84:85]
	v_add_f64 v[23:24], v[102:103], v[23:24]
	v_fma_f64 v[82:83], v[2:3], s[30:31], -v[82:83]
	v_mul_f64 v[102:103], v[118:119], s[40:41]
	v_fma_f64 v[122:123], v[2:3], s[6:7], v[86:87]
	v_fma_f64 v[86:87], v[2:3], s[6:7], -v[86:87]
	v_add_f64 v[8:9], v[80:81], v[8:9]
	v_fma_f64 v[80:81], v[0:1], s[0:1], -v[100:101]
	v_add_f64 v[12:13], v[84:85], v[12:13]
	v_mul_f64 v[84:85], v[116:117], s[56:57]
	v_add_f64 v[10:11], v[82:83], v[10:11]
	v_fma_f64 v[82:83], v[2:3], s[0:1], v[102:103]
	v_add_f64 v[37:38], v[120:121], v[37:38]
	v_add_f64 v[14:15], v[86:87], v[14:15]
	v_mul_f64 v[86:87], v[118:119], s[56:57]
	v_add_f64 v[16:17], v[80:81], v[16:17]
	v_fma_f64 v[80:81], v[0:1], s[0:1], v[100:101]
	v_mul_f64 v[100:101], v[116:117], s[28:29]
	v_fma_f64 v[120:121], v[0:1], s[24:25], -v[84:85]
	v_fma_f64 v[84:85], v[0:1], s[24:25], v[84:85]
	v_add_f64 v[39:40], v[122:123], v[39:40]
	v_add_f64 v[18:19], v[82:83], v[18:19]
	v_fma_f64 v[82:83], v[2:3], s[0:1], -v[102:103]
	v_mul_f64 v[102:103], v[118:119], s[28:29]
	v_fma_f64 v[122:123], v[2:3], s[24:25], v[86:87]
	v_fma_f64 v[86:87], v[2:3], s[24:25], -v[86:87]
	v_add_f64 v[29:30], v[80:81], v[29:30]
	v_fma_f64 v[80:81], v[0:1], s[22:23], -v[100:101]
	v_add_f64 v[84:85], v[84:85], v[25:26]
	v_mul_f64 v[25:26], v[116:117], s[36:37]
	v_add_f64 v[31:32], v[82:83], v[31:32]
	v_fma_f64 v[82:83], v[2:3], s[22:23], v[102:103]
	v_add_f64 v[96:97], v[120:121], v[96:97]
	v_add_f64 v[86:87], v[86:87], v[27:28]
	v_mul_f64 v[27:28], v[118:119], s[36:37]
	v_add_f64 v[41:42], v[80:81], v[41:42]
	v_fma_f64 v[80:81], v[0:1], s[22:23], v[100:101]
	v_mul_f64 v[100:101], v[116:117], s[48:49]
	v_fma_f64 v[120:121], v[0:1], s[38:39], -v[25:26]
	v_fma_f64 v[25:26], v[0:1], s[38:39], v[25:26]
	v_add_f64 v[98:99], v[122:123], v[98:99]
	v_add_f64 v[49:50], v[82:83], v[49:50]
	v_fma_f64 v[82:83], v[2:3], s[22:23], -v[102:103]
	v_mul_f64 v[102:103], v[118:119], s[48:49]
	v_fma_f64 v[122:123], v[2:3], s[38:39], v[27:28]
	v_fma_f64 v[27:28], v[2:3], s[38:39], -v[27:28]
	v_add_f64 v[80:81], v[80:81], v[33:34]
	v_fma_f64 v[33:34], v[0:1], s[16:17], -v[100:101]
	v_add_f64 v[92:93], v[25:26], v[92:93]
	v_mul_f64 v[25:26], v[116:117], s[20:21]
	v_add_f64 v[116:117], v[74:75], -v[78:79]
	v_add_f64 v[82:83], v[82:83], v[35:36]
	v_fma_f64 v[35:36], v[2:3], s[16:17], v[102:103]
	v_add_f64 v[94:95], v[27:28], v[94:95]
	v_mul_f64 v[27:28], v[118:119], s[20:21]
	v_add_f64 v[118:119], v[72:73], -v[76:77]
	v_add_f64 v[104:105], v[120:121], v[104:105]
	v_add_f64 v[108:109], v[33:34], v[108:109]
	v_fma_f64 v[33:34], v[0:1], s[16:17], v[100:101]
	v_add_f64 v[120:121], v[72:73], v[76:77]
	v_mul_f64 v[72:73], v[116:117], s[36:37]
	v_add_f64 v[106:107], v[122:123], v[106:107]
	v_add_f64 v[110:111], v[35:36], v[110:111]
	v_fma_f64 v[35:36], v[2:3], s[16:17], -v[102:103]
	v_add_f64 v[122:123], v[74:75], v[78:79]
	v_mul_f64 v[74:75], v[118:119], s[36:37]
	v_add_f64 v[112:113], v[124:125], v[112:113]
	v_fma_f64 v[100:101], v[0:1], s[18:19], -v[25:26]
	v_add_f64 v[88:89], v[33:34], v[88:89]
	v_fma_f64 v[0:1], v[0:1], s[18:19], v[25:26]
	v_fma_f64 v[25:26], v[120:121], s[38:39], -v[72:73]
	v_mul_f64 v[33:34], v[116:117], s[46:47]
	v_add_f64 v[114:115], v[126:127], v[114:115]
	v_fma_f64 v[102:103], v[2:3], s[18:19], v[27:28]
	v_add_f64 v[90:91], v[35:36], v[90:91]
	v_fma_f64 v[2:3], v[2:3], s[18:19], -v[27:28]
	v_fma_f64 v[27:28], v[122:123], s[38:39], v[74:75]
	v_mul_f64 v[35:36], v[118:119], s[46:47]
	v_add_f64 v[100:101], v[100:101], v[112:113]
	v_fma_f64 v[72:73], v[120:121], s[38:39], v[72:73]
	v_add_f64 v[112:113], v[0:1], v[4:5]
	v_add_f64 v[4:5], v[25:26], v[21:22]
	v_fma_f64 v[21:22], v[120:121], s[22:23], -v[33:34]
	v_add_f64 v[102:103], v[102:103], v[114:115]
	v_fma_f64 v[74:75], v[122:123], s[38:39], -v[74:75]
	v_add_f64 v[114:115], v[2:3], v[6:7]
	v_add_f64 v[6:7], v[27:28], v[23:24]
	v_fma_f64 v[23:24], v[122:123], s[22:23], v[35:36]
	v_add_f64 v[0:1], v[72:73], v[8:9]
	v_mul_f64 v[25:26], v[116:117], s[34:35]
	v_fma_f64 v[33:34], v[120:121], s[22:23], v[33:34]
	v_add_f64 v[8:9], v[21:22], v[37:38]
	v_mul_f64 v[37:38], v[116:117], s[48:49]
	v_add_f64 v[2:3], v[74:75], v[10:11]
	v_mul_f64 v[27:28], v[118:119], s[34:35]
	v_fma_f64 v[35:36], v[122:123], s[22:23], -v[35:36]
	v_add_f64 v[10:11], v[23:24], v[39:40]
	v_mul_f64 v[39:40], v[118:119], s[48:49]
	v_fma_f64 v[21:22], v[120:121], s[30:31], -v[25:26]
	v_add_f64 v[12:13], v[33:34], v[12:13]
	v_fma_f64 v[25:26], v[120:121], s[30:31], v[25:26]
	v_fma_f64 v[33:34], v[120:121], s[16:17], -v[37:38]
	v_mul_f64 v[72:73], v[116:117], s[26:27]
	v_fma_f64 v[23:24], v[122:123], s[30:31], v[27:28]
	v_add_f64 v[14:15], v[35:36], v[14:15]
	v_fma_f64 v[27:28], v[122:123], s[30:31], -v[27:28]
	v_fma_f64 v[35:36], v[122:123], s[16:17], v[39:40]
	v_mul_f64 v[74:75], v[118:119], s[26:27]
	v_add_f64 v[16:17], v[21:22], v[16:17]
	v_add_f64 v[21:22], v[25:26], v[29:30]
	;; [unrolled: 1-line block ×3, first 2 shown]
	v_fma_f64 v[33:34], v[120:121], s[24:25], -v[72:73]
	v_mul_f64 v[76:77], v[116:117], s[42:43]
	v_add_f64 v[18:19], v[23:24], v[18:19]
	v_add_f64 v[23:24], v[27:28], v[31:32]
	;; [unrolled: 1-line block ×3, first 2 shown]
	v_fma_f64 v[35:36], v[122:123], s[24:25], v[74:75]
	v_mul_f64 v[78:79], v[118:119], s[42:43]
	v_fma_f64 v[29:30], v[120:121], s[16:17], v[37:38]
	v_fma_f64 v[37:38], v[120:121], s[24:25], v[72:73]
	v_add_f64 v[33:34], v[33:34], v[41:42]
	v_fma_f64 v[41:42], v[120:121], s[6:7], -v[76:77]
	v_fma_f64 v[31:32], v[122:123], s[16:17], -v[39:40]
	;; [unrolled: 1-line block ×3, first 2 shown]
	v_add_f64 v[35:36], v[35:36], v[49:50]
	v_fma_f64 v[49:50], v[122:123], s[6:7], v[78:79]
	v_fma_f64 v[76:77], v[120:121], s[6:7], v[76:77]
	v_add_f64 v[37:38], v[37:38], v[80:81]
	v_mul_f64 v[80:81], v[116:117], s[20:21]
	v_add_f64 v[72:73], v[41:42], v[104:105]
	v_mul_f64 v[41:42], v[116:117], s[50:51]
	;; [unrolled: 2-line block ×3, first 2 shown]
	v_fma_f64 v[78:79], v[122:123], s[6:7], -v[78:79]
	v_add_f64 v[74:75], v[49:50], v[106:107]
	v_mul_f64 v[49:50], v[118:119], s[50:51]
	v_add_f64 v[29:30], v[29:30], v[84:85]
	v_add_f64 v[76:77], v[76:77], v[92:93]
	v_fma_f64 v[84:85], v[120:121], s[18:19], -v[80:81]
	v_fma_f64 v[92:93], v[120:121], s[18:19], v[80:81]
	v_fma_f64 v[96:97], v[120:121], s[0:1], -v[41:42]
	v_fma_f64 v[41:42], v[120:121], s[0:1], v[41:42]
	v_add_f64 v[31:32], v[31:32], v[86:87]
	v_fma_f64 v[86:87], v[122:123], s[18:19], v[82:83]
	v_add_f64 v[78:79], v[78:79], v[94:95]
	v_fma_f64 v[94:95], v[122:123], s[18:19], -v[82:83]
	v_fma_f64 v[98:99], v[122:123], s[0:1], v[49:50]
	v_fma_f64 v[49:50], v[122:123], s[0:1], -v[49:50]
	v_add_f64 v[80:81], v[84:85], v[108:109]
	v_add_f64 v[84:85], v[92:93], v[88:89]
	;; [unrolled: 1-line block ×3, first 2 shown]
	v_mul_lo_u16_e32 v41, 17, v43
	v_add_f64 v[82:83], v[86:87], v[110:111]
	v_lshl_add_u32 v46, v41, 4, v45
	v_add_f64 v[86:87], v[94:95], v[90:91]
	v_add_f64 v[88:89], v[96:97], v[100:101]
	;; [unrolled: 1-line block ×4, first 2 shown]
	s_barrier
	ds_write_b128 v46, v[68:71]
	ds_write_b128 v46, v[4:7] offset:16
	ds_write_b128 v46, v[8:11] offset:32
	;; [unrolled: 1-line block ×16, first 2 shown]
	s_waitcnt lgkmcnt(0)
	s_barrier
	ds_read_b128 v[112:115], v44
	ds_read_b128 v[116:119], v44 offset:1088
	ds_read_b128 v[144:147], v44 offset:9248
	;; [unrolled: 1-line block ×15, first 2 shown]
	v_cmp_gt_u16_e64 s[0:1], 34, v43
                                        ; implicit-def: $vgpr140_vgpr141
	s_and_saveexec_b64 s[6:7], s[0:1]
	s_cbranch_execz .LBB0_3
; %bb.2:
	ds_read_b128 v[0:3], v44 offset:8704
	ds_read_b128 v[140:143], v44 offset:17952
.LBB0_3:
	s_or_b64 exec, exec, s[6:7]
	s_movk_i32 s6, 0x110
	v_add_co_u32_e32 v18, vcc, s6, v43
	s_movk_i32 s6, 0x154
	v_add_co_u32_e32 v19, vcc, s6, v43
	;; [unrolled: 2-line block ×4, first 2 shown]
	v_add_co_u32_e32 v22, vcc, s6, v43
	s_movk_i32 s6, 0x220
	v_add_co_u32_e32 v16, vcc, s6, v43
	s_movk_i32 s6, 0xf1
	v_mul_lo_u16_sdwa v23, v43, s6 dst_sel:DWORD dst_unused:UNUSED_PAD src0_sel:BYTE_0 src1_sel:DWORD
	v_add_u16_e32 v25, 0x44, v43
	v_lshrrev_b16_e32 v51, 12, v23
	v_mul_lo_u16_sdwa v26, v25, s6 dst_sel:DWORD dst_unused:UNUSED_PAD src0_sel:BYTE_0 src1_sel:DWORD
	v_mul_lo_u16_e32 v23, 17, v51
	v_lshrrev_b16_e32 v53, 12, v26
	v_sub_u16_e32 v52, v43, v23
	v_mov_b32_e32 v23, 4
	v_mul_lo_u16_e32 v26, 17, v53
	v_lshlrev_b32_sdwa v24, v23, v52 dst_sel:DWORD dst_unused:UNUSED_PAD src0_sel:DWORD src1_sel:BYTE_0
	v_sub_u16_e32 v54, v25, v26
	v_lshlrev_b32_sdwa v25, v23, v54 dst_sel:DWORD dst_unused:UNUSED_PAD src0_sel:DWORD src1_sel:BYTE_0
	global_load_dwordx4 v[39:42], v24, s[14:15]
	global_load_dwordx4 v[69:72], v25, s[14:15]
	v_add_u16_e32 v24, 0x88, v43
	v_mul_lo_u16_sdwa v25, v24, s6 dst_sel:DWORD dst_unused:UNUSED_PAD src0_sel:BYTE_0 src1_sel:DWORD
	v_lshrrev_b16_e32 v55, 12, v25
	v_mul_lo_u16_e32 v25, 17, v55
	s_mov_b32 s6, 0xf0f1
	v_sub_u16_e32 v56, v24, v25
	v_mul_u32_u24_sdwa v24, v17, s6 dst_sel:DWORD dst_unused:UNUSED_PAD src0_sel:WORD_0 src1_sel:DWORD
	v_lshrrev_b32_e32 v57, 20, v24
	v_mul_lo_u16_e32 v24, 17, v57
	v_sub_u16_e32 v58, v17, v24
	v_lshlrev_b32_sdwa v23, v23, v56 dst_sel:DWORD dst_unused:UNUSED_PAD src0_sel:DWORD src1_sel:BYTE_0
	v_lshlrev_b32_e32 v17, 4, v58
	global_load_dwordx4 v[84:87], v23, s[14:15]
	global_load_dwordx4 v[73:76], v17, s[14:15]
	v_mul_u32_u24_sdwa v17, v18, s6 dst_sel:DWORD dst_unused:UNUSED_PAD src0_sel:WORD_0 src1_sel:DWORD
	v_lshrrev_b32_e32 v59, 20, v17
	v_mul_lo_u16_e32 v17, 17, v59
	v_sub_u16_e32 v60, v18, v17
	v_mul_u32_u24_sdwa v18, v19, s6 dst_sel:DWORD dst_unused:UNUSED_PAD src0_sel:WORD_0 src1_sel:DWORD
	v_lshrrev_b32_e32 v61, 20, v18
	v_mul_lo_u16_e32 v18, 17, v61
	v_sub_u16_e32 v62, v19, v18
	v_lshlrev_b32_e32 v17, 4, v60
	v_lshlrev_b32_e32 v18, 4, v62
	global_load_dwordx4 v[88:91], v17, s[14:15]
	global_load_dwordx4 v[77:80], v18, s[14:15]
	v_mul_u32_u24_sdwa v17, v21, s6 dst_sel:DWORD dst_unused:UNUSED_PAD src0_sel:WORD_0 src1_sel:DWORD
	v_mul_u32_u24_sdwa v18, v22, s6 dst_sel:DWORD dst_unused:UNUSED_PAD src0_sel:WORD_0 src1_sel:DWORD
	v_lshrrev_b32_e32 v63, 20, v17
	v_lshrrev_b32_e32 v65, 20, v18
	v_mul_lo_u16_e32 v17, 17, v63
	v_mul_lo_u16_e32 v18, 17, v65
	v_sub_u16_e32 v64, v21, v17
	v_sub_u16_e32 v66, v22, v18
	v_lshlrev_b32_e32 v17, 4, v64
	v_lshlrev_b32_e32 v18, 4, v66
	global_load_dwordx4 v[104:107], v17, s[14:15]
	global_load_dwordx4 v[96:99], v18, s[14:15]
	v_mul_u32_u24_sdwa v17, v16, s6 dst_sel:DWORD dst_unused:UNUSED_PAD src0_sel:WORD_0 src1_sel:DWORD
	v_lshrrev_b32_e32 v67, 20, v17
	v_mul_lo_u16_e32 v17, 17, v67
	v_sub_u16_e32 v68, v16, v17
	v_lshlrev_b32_e32 v17, 4, v68
	global_load_dwordx4 v[92:95], v17, s[14:15]
	v_addc_co_u32_e64 v17, s[6:7], 0, 0, vcc
	s_waitcnt vmcnt(8) lgkmcnt(13)
	v_mul_f64 v[18:19], v[146:147], v[41:42]
	v_mul_f64 v[21:22], v[144:145], v[41:42]
	s_waitcnt vmcnt(7) lgkmcnt(12)
	v_mul_f64 v[23:24], v[138:139], v[71:72]
	v_mul_f64 v[25:26], v[136:137], v[71:72]
	v_fma_f64 v[18:19], v[144:145], v[39:40], -v[18:19]
	buffer_store_dword v39, off, s[60:63], 0 offset:288 ; 4-byte Folded Spill
	s_nop 0
	buffer_store_dword v40, off, s[60:63], 0 offset:292 ; 4-byte Folded Spill
	buffer_store_dword v41, off, s[60:63], 0 offset:296 ; 4-byte Folded Spill
	buffer_store_dword v42, off, s[60:63], 0 offset:300 ; 4-byte Folded Spill
	v_fma_f64 v[41:42], v[136:137], v[69:70], -v[23:24]
	buffer_store_dword v69, off, s[60:63], 0 offset:272 ; 4-byte Folded Spill
	s_nop 0
	buffer_store_dword v70, off, s[60:63], 0 offset:276 ; 4-byte Folded Spill
	buffer_store_dword v71, off, s[60:63], 0 offset:280 ; 4-byte Folded Spill
	;; [unrolled: 1-line block ×3, first 2 shown]
	s_waitcnt vmcnt(14) lgkmcnt(9)
	v_mul_f64 v[27:28], v[154:155], v[86:87]
	s_waitcnt vmcnt(13) lgkmcnt(8)
	v_mul_f64 v[31:32], v[150:151], v[75:76]
	v_mul_f64 v[33:34], v[148:149], v[75:76]
	v_mul_f64 v[29:30], v[152:153], v[86:87]
	v_fma_f64 v[136:137], v[152:153], v[84:85], -v[27:28]
	v_fma_f64 v[144:145], v[148:149], v[73:74], -v[31:32]
	buffer_store_dword v73, off, s[60:63], 0 offset:304 ; 4-byte Folded Spill
	s_nop 0
	buffer_store_dword v74, off, s[60:63], 0 offset:308 ; 4-byte Folded Spill
	buffer_store_dword v75, off, s[60:63], 0 offset:312 ; 4-byte Folded Spill
	;; [unrolled: 1-line block ×3, first 2 shown]
	s_waitcnt vmcnt(16) lgkmcnt(5)
	v_mul_f64 v[35:36], v[158:159], v[90:91]
	s_waitcnt vmcnt(15) lgkmcnt(4)
	v_mul_f64 v[23:24], v[124:125], v[79:80]
	v_mul_f64 v[37:38], v[156:157], v[90:91]
	v_fma_f64 v[148:149], v[156:157], v[88:89], -v[35:36]
	s_waitcnt vmcnt(14) lgkmcnt(1)
	v_mul_f64 v[27:28], v[132:133], v[106:107]
	s_waitcnt vmcnt(13) lgkmcnt(0)
	v_mul_f64 v[31:32], v[128:129], v[98:99]
	s_waitcnt vmcnt(12)
	v_mul_f64 v[35:36], v[140:141], v[94:95]
	v_fma_f64 v[39:40], v[146:147], v[39:40], v[21:22]
	v_mul_f64 v[21:22], v[126:127], v[79:80]
	v_fma_f64 v[49:50], v[138:139], v[69:70], v[25:26]
	v_fma_f64 v[138:139], v[154:155], v[84:85], v[29:30]
	v_mul_f64 v[25:26], v[134:135], v[106:107]
	v_mul_f64 v[29:30], v[130:131], v[98:99]
	v_fma_f64 v[134:135], v[134:135], v[104:105], v[27:28]
	v_fma_f64 v[154:155], v[130:131], v[96:97], v[31:32]
	v_fma_f64 v[124:125], v[124:125], v[77:78], -v[21:22]
	buffer_store_dword v77, off, s[60:63], 0 offset:320 ; 4-byte Folded Spill
	s_nop 0
	buffer_store_dword v78, off, s[60:63], 0 offset:324 ; 4-byte Folded Spill
	buffer_store_dword v79, off, s[60:63], 0 offset:328 ; 4-byte Folded Spill
	;; [unrolled: 1-line block ×3, first 2 shown]
	v_add_f64 v[21:22], v[112:113], -v[18:19]
	v_fma_f64 v[132:133], v[132:133], v[104:105], -v[25:26]
	v_fma_f64 v[152:153], v[128:129], v[96:97], -v[29:30]
	v_fma_f64 v[146:147], v[150:151], v[73:74], v[33:34]
	v_mul_f64 v[33:34], v[142:143], v[94:95]
	v_fma_f64 v[150:151], v[158:159], v[88:89], v[37:38]
	v_add_f64 v[25:26], v[116:117], -v[41:42]
	v_add_f64 v[27:28], v[118:119], -v[49:50]
	;; [unrolled: 1-line block ×4, first 2 shown]
	v_fma_f64 v[142:143], v[142:143], v[92:93], v[35:36]
	v_add_f64 v[35:36], v[110:111], -v[146:147]
	v_fma_f64 v[140:141], v[140:141], v[92:93], -v[33:34]
	v_add_f64 v[33:34], v[108:109], -v[144:145]
	v_fma_f64 v[37:38], v[112:113], 2.0, -v[21:22]
	v_fma_f64 v[112:113], v[116:117], 2.0, -v[25:26]
	;; [unrolled: 1-line block ×3, first 2 shown]
	v_add_f64 v[120:121], v[8:9], -v[148:149]
	v_add_f64 v[124:125], v[12:13], -v[124:125]
	v_mad_legacy_u16 v18, v51, 34, v52
	v_add_f64 v[128:129], v[100:101], -v[132:133]
	v_add_f64 v[130:131], v[102:103], -v[134:135]
	v_and_b32_e32 v18, 0xff, v18
	v_lshl_add_u32 v18, v18, 4, v45
	v_fma_f64 v[108:109], v[108:109], 2.0, -v[33:34]
	v_fma_f64 v[110:111], v[110:111], 2.0, -v[35:36]
	v_add_f64 v[132:133], v[4:5], -v[152:153]
	v_add_f64 v[134:135], v[6:7], -v[154:155]
	s_waitcnt vmcnt(0)
	s_barrier
	buffer_store_dword v18, off, s[60:63], 0 offset:336 ; 4-byte Folded Spill
	v_fma_f64 v[8:9], v[8:9], 2.0, -v[120:121]
	v_fma_f64 v[12:13], v[12:13], 2.0, -v[124:125]
	;; [unrolled: 1-line block ×6, first 2 shown]
	v_add_f64 v[204:205], v[0:1], -v[140:141]
	v_add_f64 v[206:207], v[2:3], -v[142:143]
	v_fma_f64 v[126:127], v[126:127], v[77:78], v[23:24]
	v_add_f64 v[23:24], v[114:115], -v[39:40]
	v_add_f64 v[126:127], v[14:15], -v[126:127]
	v_fma_f64 v[39:40], v[114:115], 2.0, -v[23:24]
	v_fma_f64 v[114:115], v[118:119], 2.0, -v[27:28]
	;; [unrolled: 1-line block ×3, first 2 shown]
	v_add_f64 v[122:123], v[10:11], -v[150:151]
	ds_write_b128 v18, v[21:24] offset:272
	v_fma_f64 v[14:15], v[14:15], 2.0, -v[126:127]
	ds_write_b128 v18, v[37:40]
	v_mul_u32_u24_e32 v18, 34, v53
	v_add_u32_sdwa v18, v18, v54 dst_sel:DWORD dst_unused:UNUSED_PAD src0_sel:DWORD src1_sel:BYTE_0
	v_fma_f64 v[10:11], v[10:11], 2.0, -v[122:123]
	v_lshl_add_u32 v18, v18, 4, v45
	ds_write_b128 v18, v[112:115]
	buffer_store_dword v18, off, s[60:63], 0 offset:340 ; 4-byte Folded Spill
	ds_write_b128 v18, v[25:28] offset:272
	v_mul_u32_u24_e32 v18, 34, v55
	v_add_u32_sdwa v18, v18, v56 dst_sel:DWORD dst_unused:UNUSED_PAD src0_sel:DWORD src1_sel:BYTE_0
	v_lshl_add_u32 v18, v18, 4, v45
	ds_write_b128 v18, v[116:119]
	buffer_store_dword v18, off, s[60:63], 0 offset:344 ; 4-byte Folded Spill
	ds_write_b128 v18, v[29:32] offset:272
	v_mad_legacy_u16 v18, v57, 34, v58
	v_lshl_add_u32 v18, v18, 4, v45
	ds_write_b128 v18, v[108:111]
	buffer_store_dword v18, off, s[60:63], 0 offset:348 ; 4-byte Folded Spill
	ds_write_b128 v18, v[33:36] offset:272
	v_mad_legacy_u16 v18, v59, 34, v60
	v_lshl_add_u32 v18, v18, 4, v45
	ds_write_b128 v18, v[8:11]
	v_mad_legacy_u16 v8, v61, 34, v62
	v_lshl_add_u32 v8, v8, 4, v45
	ds_write_b128 v18, v[120:123] offset:272
	ds_write_b128 v8, v[12:15]
	buffer_store_dword v8, off, s[60:63], 0 offset:360 ; 4-byte Folded Spill
	ds_write_b128 v8, v[124:127] offset:272
	v_mad_legacy_u16 v8, v63, 34, v64
	v_lshl_add_u32 v8, v8, 4, v45
	ds_write_b128 v8, v[100:103]
	buffer_store_dword v8, off, s[60:63], 0 offset:364 ; 4-byte Folded Spill
	ds_write_b128 v8, v[128:131] offset:272
	v_mad_legacy_u16 v8, v65, 34, v66
	v_lshl_add_u32 v8, v8, 4, v45
	ds_write_b128 v8, v[4:7]
	v_mad_legacy_u16 v4, v67, 34, v68
	buffer_store_dword v18, off, s[60:63], 0 offset:352 ; 4-byte Folded Spill
	buffer_store_dword v8, off, s[60:63], 0 offset:368 ; 4-byte Folded Spill
	ds_write_b128 v8, v[132:135] offset:272
	buffer_store_dword v4, off, s[60:63], 0 offset:356 ; 4-byte Folded Spill
	s_and_saveexec_b64 s[6:7], s[0:1]
	s_cbranch_execz .LBB0_5
; %bb.4:
	buffer_load_dword v4, off, s[60:63], 0 offset:356 ; 4-byte Folded Reload
	v_fma_f64 v[2:3], v[2:3], 2.0, -v[206:207]
	v_fma_f64 v[0:1], v[0:1], 2.0, -v[204:205]
	s_waitcnt vmcnt(0)
	v_lshl_add_u32 v4, v4, 4, v45
	ds_write_b128 v4, v[0:3]
	ds_write_b128 v4, v[204:207] offset:272
.LBB0_5:
	s_or_b64 exec, exec, s[6:7]
	s_movk_i32 s6, 0xffde
	v_add_co_u32_e32 v18, vcc, s6, v43
	v_addc_co_u32_e64 v19, s[6:7], 0, -1, vcc
	v_cndmask_b32_e64 v13, v19, 0, s[0:1]
	v_cndmask_b32_e64 v12, v18, v43, s[0:1]
	v_lshlrev_b64 v[13:14], 8, v[12:13]
	s_waitcnt lgkmcnt(0)
	v_add_co_u32_e32 v41, vcc, s14, v13
	v_mov_b32_e32 v13, s15
	v_addc_co_u32_e32 v42, vcc, v13, v14, vcc
	s_waitcnt vmcnt(0)
	s_barrier
	ds_read_b128 v[172:175], v44
	ds_read_b128 v[21:24], v44 offset:1088
	ds_read_b128 v[25:28], v44 offset:2176
	;; [unrolled: 1-line block ×16, first 2 shown]
	global_load_dwordx4 v[100:103], v[41:42], off offset:320
	global_load_dwordx4 v[108:111], v[41:42], off offset:304
	;; [unrolled: 1-line block ×8, first 2 shown]
	s_mov_b32 s30, 0x5d8e7cdc
	s_mov_b32 s31, 0xbfd71e95
	s_mov_b32 s24, 0x370991
	s_mov_b32 s25, 0x3fedd6d0
	s_mov_b32 s40, 0x2a9d6da3
	s_mov_b32 s41, 0xbfe58eea
	s_mov_b32 s22, 0x75d4884
	s_mov_b32 s18, 0x923c349f
	s_mov_b32 s23, 0x3fe7a5f6
	s_mov_b32 s19, 0xbfeec746
	s_mov_b32 s20, 0xc61f0d01
	s_mov_b32 s21, 0xbfd183b1
	s_mov_b32 s50, 0x7c9e640b
	s_mov_b32 s28, 0x6c9a05f6
	s_mov_b32 s51, 0xbfeca52d
	s_mov_b32 s29, 0xbfe9895b
	s_mov_b32 s16, 0x2b2883cd
	s_mov_b32 s26, 0x6ed5f1bb
	s_mov_b32 s17, 0x3fdc86fa
	s_mov_b32 s27, 0xbfe348c8
	s_mov_b32 s36, 0xeb564b22
	s_mov_b32 s44, 0xacd6c6b4
	s_mov_b32 s37, 0xbfefdd0d
	s_mov_b32 s45, 0xbfc7851a
	s_mov_b32 s6, 0x3259b75e
	s_mov_b32 s38, 0x910ea3b9
	s_mov_b32 s42, 0x7faef3
	s_mov_b32 s7, 0x3fb79ee6
	s_mov_b32 s39, 0xbfeb34fa
	s_mov_b32 s43, 0xbfef7484
	s_mov_b32 s57, 0x3fe0d888
	s_mov_b32 s56, s34
	s_mov_b32 s55, 0x3feec746
	s_mov_b32 s54, s18
	s_mov_b32 s47, 0x3feca52d
	s_mov_b32 s46, s50
	s_mov_b32 s49, 0x3fd71e95
	s_mov_b32 s48, s30
	s_mov_b32 s53, 0x3fc7851a
	s_mov_b32 s52, s44
	s_mov_b32 s59, 0x3fe9895b
	s_mov_b32 s58, s28
	v_cmp_lt_u16_e32 vcc, 33, v43
	s_waitcnt vmcnt(4) lgkmcnt(14)
	v_mul_f64 v[13:14], v[23:24], v[130:131]
	v_fma_f64 v[49:50], v[21:22], v[128:129], -v[13:14]
	v_mul_f64 v[13:14], v[21:22], v[130:131]
	v_fma_f64 v[23:24], v[23:24], v[128:129], v[13:14]
	v_mul_f64 v[13:14], v[27:28], v[114:115]
	v_fma_f64 v[224:225], v[25:26], v[112:113], -v[13:14]
	v_mul_f64 v[13:14], v[25:26], v[114:115]
	v_fma_f64 v[222:223], v[27:28], v[112:113], v[13:14]
	s_waitcnt lgkmcnt(13)
	v_mul_f64 v[13:14], v[31:32], v[110:111]
	v_fma_f64 v[218:219], v[29:30], v[108:109], -v[13:14]
	v_mul_f64 v[13:14], v[29:30], v[110:111]
	v_fma_f64 v[216:217], v[31:32], v[108:109], v[13:14]
	s_waitcnt lgkmcnt(12)
	v_mul_f64 v[13:14], v[35:36], v[102:103]
	v_fma_f64 v[210:211], v[33:34], v[100:101], -v[13:14]
	v_mul_f64 v[13:14], v[33:34], v[102:103]
	v_fma_f64 v[208:209], v[35:36], v[100:101], v[13:14]
	s_waitcnt vmcnt(0) lgkmcnt(11)
	v_mul_f64 v[13:14], v[39:40], v[146:147]
	v_fma_f64 v[198:199], v[37:38], v[144:145], -v[13:14]
	v_mul_f64 v[13:14], v[37:38], v[146:147]
	v_fma_f64 v[196:197], v[39:40], v[144:145], v[13:14]
	s_waitcnt lgkmcnt(10)
	v_mul_f64 v[13:14], v[134:135], v[126:127]
	v_fma_f64 v[190:191], v[132:133], v[124:125], -v[13:14]
	v_mul_f64 v[13:14], v[132:133], v[126:127]
	v_fma_f64 v[188:189], v[134:135], v[124:125], v[13:14]
	s_waitcnt lgkmcnt(9)
	;; [unrolled: 5-line block ×3, first 2 shown]
	v_mul_f64 v[13:14], v[142:143], v[118:119]
	v_fma_f64 v[21:22], v[140:141], v[116:117], -v[13:14]
	v_mul_f64 v[13:14], v[140:141], v[118:119]
	v_fma_f64 v[13:14], v[142:143], v[116:117], v[13:14]
	global_load_dwordx4 v[132:135], v[41:42], off offset:448
	global_load_dwordx4 v[136:139], v[41:42], off offset:432
	;; [unrolled: 1-line block ×4, first 2 shown]
	s_waitcnt vmcnt(0) lgkmcnt(7)
	v_mul_f64 v[25:26], v[150:151], v[162:163]
	v_fma_f64 v[178:179], v[148:149], v[160:161], -v[25:26]
	v_mul_f64 v[25:26], v[148:149], v[162:163]
	v_fma_f64 v[176:177], v[150:151], v[160:161], v[25:26]
	s_waitcnt lgkmcnt(6)
	v_mul_f64 v[25:26], v[154:155], v[142:143]
	v_fma_f64 v[186:187], v[152:153], v[140:141], -v[25:26]
	v_mul_f64 v[25:26], v[152:153], v[142:143]
	v_fma_f64 v[184:185], v[154:155], v[140:141], v[25:26]
	s_waitcnt lgkmcnt(5)
	;; [unrolled: 5-line block ×3, first 2 shown]
	v_mul_f64 v[25:26], v[166:167], v[134:135]
	v_fma_f64 v[202:203], v[164:165], v[132:133], -v[25:26]
	v_mul_f64 v[25:26], v[164:165], v[134:135]
	v_fma_f64 v[200:201], v[166:167], v[132:133], v[25:26]
	global_load_dwordx4 v[148:151], v[41:42], off offset:512
	global_load_dwordx4 v[152:155], v[41:42], off offset:496
	;; [unrolled: 1-line block ×4, first 2 shown]
	s_waitcnt vmcnt(0) lgkmcnt(0)
	s_barrier
	v_mul_f64 v[25:26], v[170:171], v[166:167]
	v_fma_f64 v[214:215], v[168:169], v[164:165], -v[25:26]
	v_mul_f64 v[25:26], v[168:169], v[166:167]
	v_fma_f64 v[212:213], v[170:171], v[164:165], v[25:26]
	v_mul_f64 v[25:26], v[10:11], v[158:159]
	v_fma_f64 v[220:221], v[8:9], v[156:157], -v[25:26]
	v_mul_f64 v[8:9], v[8:9], v[158:159]
	v_fma_f64 v[8:9], v[10:11], v[156:157], v[8:9]
	;; [unrolled: 4-line block ×4, first 2 shown]
	v_add_f64 v[0:1], v[172:173], v[49:50]
	v_add_f64 v[2:3], v[174:175], v[23:24]
	v_add_f64 v[226:227], v[23:24], -v[25:26]
	v_add_f64 v[0:1], v[0:1], v[224:225]
	v_add_f64 v[2:3], v[2:3], v[222:223]
	v_mul_f64 v[31:32], v[226:227], s[18:19]
	v_add_f64 v[0:1], v[0:1], v[218:219]
	v_add_f64 v[2:3], v[2:3], v[216:217]
	v_mul_f64 v[57:58], v[226:227], s[44:45]
	v_add_f64 v[0:1], v[0:1], v[210:211]
	v_add_f64 v[2:3], v[2:3], v[208:209]
	;; [unrolled: 1-line block ×28, first 2 shown]
	v_mul_f64 v[23:24], v[226:227], s[30:31]
	v_add_f64 v[6:7], v[49:50], -v[6:7]
	v_fma_f64 v[41:42], v[2:3], s[20:21], -v[31:32]
	v_fma_f64 v[31:32], v[2:3], s[20:21], v[31:32]
	v_fma_f64 v[25:26], v[2:3], s[24:25], -v[23:24]
	v_fma_f64 v[23:24], v[2:3], s[24:25], v[23:24]
	v_mul_f64 v[49:50], v[6:7], s[18:19]
	v_mul_f64 v[250:251], v[6:7], s[28:29]
	;; [unrolled: 1-line block ×3, first 2 shown]
	v_add_f64 v[41:42], v[172:173], v[41:42]
	v_add_f64 v[236:237], v[172:173], v[31:32]
	;; [unrolled: 1-line block ×3, first 2 shown]
	v_mul_f64 v[25:26], v[6:7], s[30:31]
	v_add_f64 v[242:243], v[172:173], v[23:24]
	v_fma_f64 v[234:235], v[0:1], s[20:21], v[49:50]
	v_fma_f64 v[31:32], v[0:1], s[20:21], -v[49:50]
	v_mul_f64 v[49:50], v[226:227], s[28:29]
	v_fma_f64 v[246:247], v[0:1], s[26:27], v[250:251]
	v_fma_f64 v[55:56], v[0:1], s[38:39], v[53:54]
	v_fma_f64 v[53:54], v[0:1], s[38:39], -v[53:54]
	v_fma_f64 v[23:24], v[0:1], s[24:25], -v[25:26]
	v_fma_f64 v[27:28], v[0:1], s[24:25], v[25:26]
	v_add_f64 v[234:235], v[174:175], v[234:235]
	v_add_f64 v[238:239], v[174:175], v[31:32]
	v_fma_f64 v[31:32], v[2:3], s[26:27], -v[49:50]
	v_fma_f64 v[49:50], v[2:3], s[26:27], v[49:50]
	v_add_f64 v[246:247], v[174:175], v[246:247]
	v_add_f64 v[55:56], v[174:175], v[55:56]
	;; [unrolled: 1-line block ×3, first 2 shown]
	v_mul_f64 v[23:24], v[226:227], s[40:41]
	v_add_f64 v[240:241], v[174:175], v[27:28]
	v_add_f64 v[53:54], v[174:175], v[53:54]
	;; [unrolled: 1-line block ×4, first 2 shown]
	v_fma_f64 v[49:50], v[0:1], s[26:27], -v[250:251]
	v_fma_f64 v[25:26], v[2:3], s[22:23], -v[23:24]
	v_fma_f64 v[23:24], v[2:3], s[22:23], v[23:24]
	v_add_f64 v[250:251], v[174:175], v[49:50]
	v_mul_f64 v[49:50], v[226:227], s[34:35]
	v_add_f64 v[33:34], v[172:173], v[25:26]
	v_mul_f64 v[25:26], v[6:7], s[40:41]
	v_add_f64 v[254:255], v[172:173], v[23:24]
	v_fma_f64 v[51:52], v[2:3], s[38:39], -v[49:50]
	v_fma_f64 v[49:50], v[2:3], s[38:39], v[49:50]
	v_fma_f64 v[27:28], v[0:1], s[22:23], v[25:26]
	v_fma_f64 v[23:24], v[0:1], s[22:23], -v[25:26]
	v_mul_f64 v[25:26], v[226:227], s[50:51]
	v_add_f64 v[51:52], v[172:173], v[51:52]
	v_add_f64 v[49:50], v[172:173], v[49:50]
	;; [unrolled: 1-line block ×4, first 2 shown]
	v_fma_f64 v[27:28], v[2:3], s[16:17], -v[25:26]
	v_fma_f64 v[25:26], v[2:3], s[16:17], v[25:26]
	v_add_f64 v[39:40], v[172:173], v[27:28]
	v_mul_f64 v[27:28], v[6:7], s[50:51]
	v_add_f64 v[230:231], v[172:173], v[25:26]
	v_fma_f64 v[29:30], v[0:1], s[16:17], v[27:28]
	v_fma_f64 v[25:26], v[0:1], s[16:17], -v[27:28]
	v_mul_f64 v[27:28], v[226:227], s[36:37]
	v_fma_f64 v[226:227], v[2:3], s[42:43], -v[57:58]
	v_add_f64 v[228:229], v[174:175], v[29:30]
	v_add_f64 v[232:233], v[174:175], v[25:26]
	v_fma_f64 v[25:26], v[2:3], s[6:7], -v[27:28]
	v_mul_f64 v[29:30], v[6:7], s[36:37]
	v_fma_f64 v[27:28], v[2:3], s[6:7], v[27:28]
	v_mul_f64 v[6:7], v[6:7], s[44:45]
	v_fma_f64 v[2:3], v[2:3], s[42:43], v[57:58]
	v_add_f64 v[57:58], v[222:223], v[4:5]
	v_add_f64 v[4:5], v[222:223], -v[4:5]
	v_add_f64 v[226:227], v[172:173], v[226:227]
	v_add_f64 v[35:36], v[172:173], v[25:26]
	v_fma_f64 v[25:26], v[0:1], s[6:7], v[29:30]
	v_fma_f64 v[29:30], v[0:1], s[6:7], -v[29:30]
	v_fma_f64 v[59:60], v[0:1], s[42:43], v[6:7]
	v_fma_f64 v[0:1], v[0:1], s[42:43], -v[6:7]
	v_add_f64 v[6:7], v[224:225], v[10:11]
	v_mul_f64 v[61:62], v[4:5], s[40:41]
	v_add_f64 v[27:28], v[172:173], v[27:28]
	v_add_f64 v[2:3], v[172:173], v[2:3]
	v_add_f64 v[10:11], v[224:225], -v[10:11]
	v_mul_f64 v[222:223], v[4:5], s[36:37]
	v_add_f64 v[25:26], v[174:175], v[25:26]
	v_add_f64 v[29:30], v[174:175], v[29:30]
	;; [unrolled: 1-line block ×3, first 2 shown]
	v_fma_f64 v[172:173], v[6:7], s[22:23], -v[61:62]
	v_add_f64 v[0:1], v[174:175], v[0:1]
	v_fma_f64 v[61:62], v[6:7], s[22:23], v[61:62]
	v_fma_f64 v[224:225], v[6:7], s[6:7], -v[222:223]
	v_fma_f64 v[222:223], v[6:7], s[6:7], v[222:223]
	v_add_f64 v[37:38], v[172:173], v[37:38]
	v_mul_f64 v[172:173], v[10:11], s[40:41]
	v_add_f64 v[61:62], v[61:62], v[242:243]
	v_add_f64 v[33:34], v[224:225], v[33:34]
	v_mul_f64 v[224:225], v[10:11], s[36:37]
	v_add_f64 v[222:223], v[222:223], v[254:255]
	v_fma_f64 v[174:175], v[57:58], s[22:23], v[172:173]
	v_fma_f64 v[172:173], v[57:58], s[22:23], -v[172:173]
	v_add_f64 v[174:175], v[174:175], v[240:241]
	v_fma_f64 v[240:241], v[57:58], s[6:7], v[224:225]
	v_fma_f64 v[224:225], v[57:58], s[6:7], -v[224:225]
	v_add_f64 v[172:173], v[172:173], v[244:245]
	v_add_f64 v[240:241], v[240:241], v[252:253]
	;; [unrolled: 1-line block ×3, first 2 shown]
	v_mul_f64 v[224:225], v[4:5], s[28:29]
	v_fma_f64 v[242:243], v[6:7], s[26:27], -v[224:225]
	v_fma_f64 v[224:225], v[6:7], s[26:27], v[224:225]
	v_add_f64 v[39:40], v[242:243], v[39:40]
	v_mul_f64 v[242:243], v[10:11], s[28:29]
	v_add_f64 v[224:225], v[224:225], v[230:231]
	v_fma_f64 v[230:231], v[57:58], s[26:27], -v[242:243]
	v_fma_f64 v[244:245], v[57:58], s[26:27], v[242:243]
	v_add_f64 v[230:231], v[230:231], v[232:233]
	v_mul_f64 v[232:233], v[4:5], s[44:45]
	v_add_f64 v[228:229], v[244:245], v[228:229]
	;; [unrolled: 5-line block ×7, first 2 shown]
	v_fma_f64 v[244:245], v[57:58], s[20:21], v[242:243]
	v_fma_f64 v[242:243], v[57:58], s[20:21], -v[242:243]
	v_add_f64 v[244:245], v[244:245], v[246:247]
	v_mul_f64 v[246:247], v[4:5], s[46:47]
	v_mul_f64 v[4:5], v[4:5], s[48:49]
	v_add_f64 v[242:243], v[242:243], v[250:251]
	v_fma_f64 v[248:249], v[6:7], s[16:17], -v[246:247]
	v_fma_f64 v[246:247], v[6:7], s[16:17], v[246:247]
	v_add_f64 v[51:52], v[248:249], v[51:52]
	v_mul_f64 v[248:249], v[10:11], s[46:47]
	v_add_f64 v[49:50], v[246:247], v[49:50]
	v_mul_f64 v[10:11], v[10:11], s[48:49]
	v_fma_f64 v[246:247], v[57:58], s[16:17], -v[248:249]
	v_fma_f64 v[250:251], v[57:58], s[16:17], v[248:249]
	v_add_f64 v[53:54], v[246:247], v[53:54]
	v_fma_f64 v[246:247], v[6:7], s[24:25], -v[4:5]
	v_fma_f64 v[4:5], v[6:7], s[24:25], v[4:5]
	v_add_f64 v[6:7], v[216:217], v[8:9]
	v_add_f64 v[8:9], v[216:217], -v[8:9]
	v_add_f64 v[55:56], v[250:251], v[55:56]
	v_add_f64 v[226:227], v[246:247], v[226:227]
	;; [unrolled: 1-line block ×3, first 2 shown]
	v_fma_f64 v[4:5], v[57:58], s[24:25], -v[10:11]
	v_fma_f64 v[246:247], v[57:58], s[24:25], v[10:11]
	v_mul_f64 v[57:58], v[8:9], s[50:51]
	v_add_f64 v[10:11], v[218:219], -v[220:221]
	v_add_f64 v[0:1], v[4:5], v[0:1]
	v_add_f64 v[4:5], v[218:219], v[220:221]
	;; [unrolled: 1-line block ×3, first 2 shown]
	v_fma_f64 v[216:217], v[4:5], s[16:17], -v[57:58]
	v_fma_f64 v[57:58], v[4:5], s[16:17], v[57:58]
	v_add_f64 v[37:38], v[216:217], v[37:38]
	v_mul_f64 v[216:217], v[10:11], s[50:51]
	v_add_f64 v[57:58], v[57:58], v[61:62]
	v_fma_f64 v[61:62], v[6:7], s[16:17], -v[216:217]
	v_fma_f64 v[218:219], v[6:7], s[16:17], v[216:217]
	v_add_f64 v[61:62], v[61:62], v[172:173]
	v_mul_f64 v[172:173], v[8:9], s[28:29]
	v_add_f64 v[174:175], v[218:219], v[174:175]
	;; [unrolled: 5-line block ×3, first 2 shown]
	v_fma_f64 v[218:219], v[6:7], s[26:27], v[216:217]
	v_fma_f64 v[216:217], v[6:7], s[26:27], -v[216:217]
	v_add_f64 v[218:219], v[218:219], v[240:241]
	v_add_f64 v[23:24], v[216:217], v[23:24]
	v_mul_f64 v[216:217], v[8:9], s[52:53]
	v_fma_f64 v[220:221], v[4:5], s[42:43], -v[216:217]
	v_fma_f64 v[216:217], v[4:5], s[42:43], v[216:217]
	v_add_f64 v[39:40], v[220:221], v[39:40]
	v_mul_f64 v[220:221], v[10:11], s[52:53]
	v_add_f64 v[216:217], v[216:217], v[224:225]
	v_mul_f64 v[224:225], v[8:9], s[54:55]
	s_mov_b32 s53, 0x3fe58eea
	s_mov_b32 s52, s40
	v_fma_f64 v[222:223], v[6:7], s[42:43], v[220:221]
	v_fma_f64 v[220:221], v[6:7], s[42:43], -v[220:221]
	v_add_f64 v[222:223], v[222:223], v[228:229]
	v_fma_f64 v[228:229], v[4:5], s[20:21], -v[224:225]
	v_fma_f64 v[224:225], v[4:5], s[20:21], v[224:225]
	v_add_f64 v[220:221], v[220:221], v[230:231]
	v_add_f64 v[35:36], v[228:229], v[35:36]
	v_mul_f64 v[228:229], v[10:11], s[54:55]
	v_add_f64 v[27:28], v[224:225], v[27:28]
	v_fma_f64 v[224:225], v[6:7], s[20:21], -v[228:229]
	v_fma_f64 v[230:231], v[6:7], s[20:21], v[228:229]
	v_add_f64 v[29:30], v[224:225], v[29:30]
	v_mul_f64 v[224:225], v[8:9], s[52:53]
	v_add_f64 v[25:26], v[230:231], v[25:26]
	v_fma_f64 v[228:229], v[4:5], s[22:23], -v[224:225]
	v_fma_f64 v[224:225], v[4:5], s[22:23], v[224:225]
	v_add_f64 v[41:42], v[228:229], v[41:42]
	v_mul_f64 v[228:229], v[10:11], s[52:53]
	v_add_f64 v[224:225], v[224:225], v[232:233]
	v_mul_f64 v[232:233], v[8:9], s[30:31]
	v_fma_f64 v[230:231], v[6:7], s[22:23], v[228:229]
	v_fma_f64 v[228:229], v[6:7], s[22:23], -v[228:229]
	v_add_f64 v[230:231], v[230:231], v[234:235]
	v_fma_f64 v[234:235], v[4:5], s[24:25], -v[232:233]
	v_fma_f64 v[232:233], v[4:5], s[24:25], v[232:233]
	v_add_f64 v[228:229], v[228:229], v[236:237]
	v_add_f64 v[31:32], v[234:235], v[31:32]
	;; [unrolled: 1-line block ×3, first 2 shown]
	v_mul_f64 v[238:239], v[8:9], s[36:37]
	v_mul_f64 v[8:9], v[8:9], s[34:35]
	;; [unrolled: 1-line block ×3, first 2 shown]
	v_fma_f64 v[240:241], v[4:5], s[6:7], -v[238:239]
	v_fma_f64 v[238:239], v[4:5], s[6:7], v[238:239]
	v_fma_f64 v[236:237], v[6:7], s[24:25], v[234:235]
	v_fma_f64 v[234:235], v[6:7], s[24:25], -v[234:235]
	v_add_f64 v[51:52], v[240:241], v[51:52]
	v_mul_f64 v[240:241], v[10:11], s[36:37]
	v_add_f64 v[49:50], v[238:239], v[49:50]
	v_mul_f64 v[10:11], v[10:11], s[34:35]
	v_add_f64 v[234:235], v[234:235], v[242:243]
	v_add_f64 v[236:237], v[236:237], v[244:245]
	v_fma_f64 v[238:239], v[6:7], s[6:7], -v[240:241]
	v_fma_f64 v[242:243], v[6:7], s[6:7], v[240:241]
	v_add_f64 v[53:54], v[238:239], v[53:54]
	v_fma_f64 v[238:239], v[4:5], s[38:39], -v[8:9]
	v_fma_f64 v[4:5], v[4:5], s[38:39], v[8:9]
	v_add_f64 v[8:9], v[210:211], -v[214:215]
	v_add_f64 v[55:56], v[242:243], v[55:56]
	v_add_f64 v[226:227], v[238:239], v[226:227]
	v_fma_f64 v[238:239], v[6:7], s[38:39], v[10:11]
	v_add_f64 v[2:3], v[4:5], v[2:3]
	v_fma_f64 v[4:5], v[6:7], s[38:39], -v[10:11]
	v_add_f64 v[10:11], v[208:209], -v[212:213]
	v_add_f64 v[6:7], v[208:209], v[212:213]
	v_add_f64 v[59:60], v[238:239], v[59:60]
	v_add_f64 v[0:1], v[4:5], v[0:1]
	v_add_f64 v[4:5], v[210:211], v[214:215]
	v_mul_f64 v[208:209], v[10:11], s[36:37]
	v_fma_f64 v[210:211], v[4:5], s[6:7], -v[208:209]
	v_fma_f64 v[208:209], v[4:5], s[6:7], v[208:209]
	v_add_f64 v[37:38], v[210:211], v[37:38]
	v_mul_f64 v[210:211], v[8:9], s[36:37]
	v_add_f64 v[57:58], v[208:209], v[57:58]
	v_fma_f64 v[208:209], v[6:7], s[6:7], -v[210:211]
	v_fma_f64 v[212:213], v[6:7], s[6:7], v[210:211]
	v_add_f64 v[61:62], v[208:209], v[61:62]
	v_mul_f64 v[208:209], v[10:11], s[44:45]
	v_add_f64 v[174:175], v[212:213], v[174:175]
	;; [unrolled: 5-line block ×4, first 2 shown]
	v_fma_f64 v[210:211], v[4:5], s[20:21], -v[208:209]
	v_fma_f64 v[208:209], v[4:5], s[20:21], v[208:209]
	v_add_f64 v[39:40], v[210:211], v[39:40]
	v_add_f64 v[208:209], v[208:209], v[216:217]
	v_mul_f64 v[216:217], v[10:11], s[48:49]
	v_mul_f64 v[210:211], v[8:9], s[54:55]
	v_fma_f64 v[218:219], v[4:5], s[24:25], -v[216:217]
	v_fma_f64 v[216:217], v[4:5], s[24:25], v[216:217]
	v_fma_f64 v[214:215], v[6:7], s[20:21], v[210:211]
	v_fma_f64 v[210:211], v[6:7], s[20:21], -v[210:211]
	v_add_f64 v[35:36], v[218:219], v[35:36]
	v_mul_f64 v[218:219], v[8:9], s[48:49]
	v_add_f64 v[27:28], v[216:217], v[27:28]
	v_add_f64 v[210:211], v[210:211], v[220:221]
	;; [unrolled: 1-line block ×3, first 2 shown]
	v_mul_f64 v[222:223], v[10:11], s[34:35]
	v_fma_f64 v[216:217], v[6:7], s[24:25], -v[218:219]
	v_fma_f64 v[220:221], v[6:7], s[24:25], v[218:219]
	v_add_f64 v[29:30], v[216:217], v[29:30]
	v_mul_f64 v[216:217], v[10:11], s[50:51]
	v_add_f64 v[25:26], v[220:221], v[25:26]
	v_fma_f64 v[218:219], v[4:5], s[16:17], -v[216:217]
	v_fma_f64 v[216:217], v[4:5], s[16:17], v[216:217]
	v_add_f64 v[41:42], v[218:219], v[41:42]
	v_mul_f64 v[218:219], v[8:9], s[50:51]
	v_add_f64 v[216:217], v[216:217], v[224:225]
	v_fma_f64 v[224:225], v[4:5], s[38:39], -v[222:223]
	v_fma_f64 v[222:223], v[4:5], s[38:39], v[222:223]
	v_fma_f64 v[220:221], v[6:7], s[16:17], v[218:219]
	v_fma_f64 v[218:219], v[6:7], s[16:17], -v[218:219]
	v_add_f64 v[31:32], v[224:225], v[31:32]
	v_add_f64 v[222:223], v[222:223], v[232:233]
	v_mul_f64 v[224:225], v[8:9], s[34:35]
	v_add_f64 v[220:221], v[220:221], v[230:231]
	v_mul_f64 v[230:231], v[10:11], s[58:59]
	v_mul_f64 v[10:11], v[10:11], s[52:53]
	v_add_f64 v[218:219], v[218:219], v[228:229]
	v_fma_f64 v[228:229], v[6:7], s[38:39], v[224:225]
	v_fma_f64 v[224:225], v[6:7], s[38:39], -v[224:225]
	v_fma_f64 v[232:233], v[4:5], s[26:27], -v[230:231]
	v_fma_f64 v[230:231], v[4:5], s[26:27], v[230:231]
	v_add_f64 v[228:229], v[228:229], v[236:237]
	v_add_f64 v[224:225], v[224:225], v[234:235]
	;; [unrolled: 1-line block ×3, first 2 shown]
	v_mul_f64 v[232:233], v[8:9], s[58:59]
	v_add_f64 v[49:50], v[230:231], v[49:50]
	v_mul_f64 v[8:9], v[8:9], s[52:53]
	v_fma_f64 v[230:231], v[6:7], s[26:27], -v[232:233]
	v_fma_f64 v[234:235], v[6:7], s[26:27], v[232:233]
	v_add_f64 v[53:54], v[230:231], v[53:54]
	v_fma_f64 v[230:231], v[4:5], s[22:23], -v[10:11]
	v_fma_f64 v[4:5], v[4:5], s[22:23], v[10:11]
	v_add_f64 v[10:11], v[196:197], -v[200:201]
	v_add_f64 v[55:56], v[234:235], v[55:56]
	v_add_f64 v[226:227], v[230:231], v[226:227]
	;; [unrolled: 1-line block ×3, first 2 shown]
	v_fma_f64 v[4:5], v[6:7], s[22:23], -v[8:9]
	v_fma_f64 v[230:231], v[6:7], s[22:23], v[8:9]
	v_add_f64 v[6:7], v[196:197], v[200:201]
	v_mul_f64 v[196:197], v[10:11], s[18:19]
	v_add_f64 v[8:9], v[198:199], -v[202:203]
	v_add_f64 v[0:1], v[4:5], v[0:1]
	v_add_f64 v[4:5], v[198:199], v[202:203]
	;; [unrolled: 1-line block ×3, first 2 shown]
	v_fma_f64 v[198:199], v[4:5], s[20:21], -v[196:197]
	v_fma_f64 v[196:197], v[4:5], s[20:21], v[196:197]
	v_add_f64 v[37:38], v[198:199], v[37:38]
	v_mul_f64 v[198:199], v[8:9], s[18:19]
	v_add_f64 v[57:58], v[196:197], v[57:58]
	v_fma_f64 v[196:197], v[6:7], s[20:21], -v[198:199]
	v_fma_f64 v[200:201], v[6:7], s[20:21], v[198:199]
	v_add_f64 v[61:62], v[196:197], v[61:62]
	v_mul_f64 v[196:197], v[10:11], s[56:57]
	v_add_f64 v[174:175], v[200:201], v[174:175]
	v_fma_f64 v[198:199], v[4:5], s[38:39], -v[196:197]
	v_fma_f64 v[196:197], v[4:5], s[38:39], v[196:197]
	v_add_f64 v[33:34], v[198:199], v[33:34]
	v_mul_f64 v[198:199], v[8:9], s[56:57]
	v_add_f64 v[172:173], v[196:197], v[172:173]
	v_fma_f64 v[196:197], v[6:7], s[38:39], -v[198:199]
	v_fma_f64 v[200:201], v[6:7], s[38:39], v[198:199]
	v_add_f64 v[23:24], v[196:197], v[23:24]
	v_mul_f64 v[196:197], v[10:11], s[52:53]
	v_add_f64 v[200:201], v[200:201], v[212:213]
	v_fma_f64 v[198:199], v[4:5], s[22:23], -v[196:197]
	v_fma_f64 v[196:197], v[4:5], s[22:23], v[196:197]
	v_add_f64 v[39:40], v[198:199], v[39:40]
	v_mul_f64 v[198:199], v[8:9], s[52:53]
	v_add_f64 v[196:197], v[196:197], v[208:209]
	v_mul_f64 v[208:209], v[10:11], s[50:51]
	v_fma_f64 v[202:203], v[6:7], s[22:23], v[198:199]
	v_fma_f64 v[198:199], v[6:7], s[22:23], -v[198:199]
	v_add_f64 v[202:203], v[202:203], v[214:215]
	v_add_f64 v[198:199], v[198:199], v[210:211]
	v_fma_f64 v[210:211], v[4:5], s[16:17], -v[208:209]
	v_fma_f64 v[208:209], v[4:5], s[16:17], v[208:209]
	v_add_f64 v[35:36], v[210:211], v[35:36]
	v_mul_f64 v[210:211], v[8:9], s[50:51]
	v_add_f64 v[27:28], v[208:209], v[27:28]
	s_mov_b32 s51, 0x3fefdd0d
	s_mov_b32 s50, s36
	v_mul_f64 v[214:215], v[10:11], s[50:51]
	v_fma_f64 v[208:209], v[6:7], s[16:17], -v[210:211]
	v_fma_f64 v[212:213], v[6:7], s[16:17], v[210:211]
	v_add_f64 v[29:30], v[208:209], v[29:30]
	v_mul_f64 v[208:209], v[10:11], s[44:45]
	v_add_f64 v[25:26], v[212:213], v[25:26]
	v_fma_f64 v[210:211], v[4:5], s[42:43], -v[208:209]
	v_fma_f64 v[208:209], v[4:5], s[42:43], v[208:209]
	v_add_f64 v[41:42], v[210:211], v[41:42]
	v_mul_f64 v[210:211], v[8:9], s[44:45]
	v_add_f64 v[208:209], v[208:209], v[216:217]
	v_fma_f64 v[216:217], v[4:5], s[6:7], -v[214:215]
	v_fma_f64 v[214:215], v[4:5], s[6:7], v[214:215]
	v_fma_f64 v[212:213], v[6:7], s[42:43], v[210:211]
	v_fma_f64 v[210:211], v[6:7], s[42:43], -v[210:211]
	v_add_f64 v[31:32], v[216:217], v[31:32]
	v_add_f64 v[214:215], v[214:215], v[222:223]
	v_mul_f64 v[216:217], v[8:9], s[50:51]
	v_add_f64 v[212:213], v[212:213], v[220:221]
	v_mul_f64 v[220:221], v[10:11], s[30:31]
	v_mul_f64 v[10:11], v[10:11], s[28:29]
	v_add_f64 v[210:211], v[210:211], v[218:219]
	v_fma_f64 v[218:219], v[6:7], s[6:7], v[216:217]
	v_fma_f64 v[216:217], v[6:7], s[6:7], -v[216:217]
	v_fma_f64 v[222:223], v[4:5], s[24:25], -v[220:221]
	v_fma_f64 v[220:221], v[4:5], s[24:25], v[220:221]
	v_add_f64 v[218:219], v[218:219], v[228:229]
	v_add_f64 v[216:217], v[216:217], v[224:225]
	;; [unrolled: 1-line block ×3, first 2 shown]
	v_mul_f64 v[222:223], v[8:9], s[30:31]
	v_add_f64 v[49:50], v[220:221], v[49:50]
	v_mul_f64 v[8:9], v[8:9], s[28:29]
	v_fma_f64 v[220:221], v[6:7], s[24:25], -v[222:223]
	v_fma_f64 v[224:225], v[6:7], s[24:25], v[222:223]
	v_fma_f64 v[222:223], v[6:7], s[26:27], v[8:9]
	v_add_f64 v[53:54], v[220:221], v[53:54]
	v_fma_f64 v[220:221], v[4:5], s[26:27], -v[10:11]
	v_fma_f64 v[4:5], v[4:5], s[26:27], v[10:11]
	v_add_f64 v[10:11], v[188:189], -v[192:193]
	v_add_f64 v[55:56], v[224:225], v[55:56]
	v_add_f64 v[59:60], v[222:223], v[59:60]
	;; [unrolled: 1-line block ×3, first 2 shown]
	v_add_f64 v[13:14], v[13:14], -v[176:177]
	v_add_f64 v[222:223], v[21:22], v[178:179]
	v_add_f64 v[220:221], v[220:221], v[226:227]
	;; [unrolled: 1-line block ×3, first 2 shown]
	v_fma_f64 v[4:5], v[6:7], s[26:27], -v[8:9]
	v_add_f64 v[6:7], v[188:189], v[192:193]
	v_mul_f64 v[188:189], v[10:11], s[28:29]
	v_add_f64 v[8:9], v[190:191], -v[194:195]
	v_add_f64 v[226:227], v[21:22], -v[178:179]
	v_add_f64 v[0:1], v[4:5], v[0:1]
	v_add_f64 v[4:5], v[190:191], v[194:195]
	v_fma_f64 v[190:191], v[4:5], s[26:27], -v[188:189]
	v_fma_f64 v[188:189], v[4:5], s[26:27], v[188:189]
	v_add_f64 v[37:38], v[190:191], v[37:38]
	v_mul_f64 v[190:191], v[8:9], s[28:29]
	v_add_f64 v[57:58], v[188:189], v[57:58]
	v_fma_f64 v[188:189], v[6:7], s[26:27], -v[190:191]
	v_fma_f64 v[192:193], v[6:7], s[26:27], v[190:191]
	v_add_f64 v[61:62], v[188:189], v[61:62]
	v_mul_f64 v[188:189], v[10:11], s[54:55]
	;; [unrolled: 5-line block ×5, first 2 shown]
	v_add_f64 v[188:189], v[188:189], v[196:197]
	v_mul_f64 v[196:197], v[10:11], s[34:35]
	v_fma_f64 v[194:195], v[6:7], s[24:25], v[190:191]
	v_fma_f64 v[190:191], v[6:7], s[24:25], -v[190:191]
	v_add_f64 v[194:195], v[194:195], v[202:203]
	v_add_f64 v[190:191], v[190:191], v[198:199]
	v_fma_f64 v[198:199], v[4:5], s[38:39], -v[196:197]
	v_fma_f64 v[196:197], v[4:5], s[38:39], v[196:197]
	v_mul_f64 v[202:203], v[10:11], s[40:41]
	v_add_f64 v[35:36], v[198:199], v[35:36]
	v_mul_f64 v[198:199], v[8:9], s[34:35]
	v_add_f64 v[27:28], v[196:197], v[27:28]
	v_fma_f64 v[196:197], v[6:7], s[38:39], -v[198:199]
	v_fma_f64 v[200:201], v[6:7], s[38:39], v[198:199]
	v_add_f64 v[29:30], v[196:197], v[29:30]
	v_mul_f64 v[196:197], v[10:11], s[50:51]
	v_add_f64 v[25:26], v[200:201], v[25:26]
	v_fma_f64 v[198:199], v[4:5], s[6:7], -v[196:197]
	v_fma_f64 v[196:197], v[4:5], s[6:7], v[196:197]
	;; [unrolled: 5-line block ×3, first 2 shown]
	v_fma_f64 v[200:201], v[6:7], s[6:7], v[198:199]
	v_fma_f64 v[198:199], v[6:7], s[6:7], -v[198:199]
	v_add_f64 v[31:32], v[208:209], v[31:32]
	v_add_f64 v[202:203], v[202:203], v[214:215]
	v_mul_f64 v[208:209], v[8:9], s[40:41]
	v_add_f64 v[200:201], v[200:201], v[212:213]
	v_mul_f64 v[212:213], v[10:11], s[44:45]
	v_mul_f64 v[10:11], v[10:11], s[46:47]
	v_add_f64 v[198:199], v[198:199], v[210:211]
	v_fma_f64 v[210:211], v[6:7], s[22:23], v[208:209]
	v_fma_f64 v[208:209], v[6:7], s[22:23], -v[208:209]
	v_fma_f64 v[214:215], v[4:5], s[42:43], -v[212:213]
	v_fma_f64 v[212:213], v[4:5], s[42:43], v[212:213]
	v_add_f64 v[210:211], v[210:211], v[218:219]
	v_add_f64 v[208:209], v[208:209], v[216:217]
	;; [unrolled: 1-line block ×3, first 2 shown]
	v_mul_f64 v[214:215], v[8:9], s[44:45]
	v_add_f64 v[49:50], v[212:213], v[49:50]
	v_mul_f64 v[8:9], v[8:9], s[46:47]
	v_fma_f64 v[212:213], v[6:7], s[42:43], -v[214:215]
	v_fma_f64 v[216:217], v[6:7], s[42:43], v[214:215]
	v_fma_f64 v[214:215], v[6:7], s[16:17], v[8:9]
	v_add_f64 v[53:54], v[212:213], v[53:54]
	v_fma_f64 v[212:213], v[4:5], s[16:17], -v[10:11]
	v_fma_f64 v[4:5], v[4:5], s[16:17], v[10:11]
	v_add_f64 v[10:11], v[180:181], -v[184:185]
	v_add_f64 v[55:56], v[216:217], v[55:56]
	v_add_f64 v[59:60], v[214:215], v[59:60]
	;; [unrolled: 1-line block ×4, first 2 shown]
	v_fma_f64 v[4:5], v[6:7], s[16:17], -v[8:9]
	v_add_f64 v[6:7], v[180:181], v[184:185]
	v_mul_f64 v[180:181], v[10:11], s[34:35]
	v_add_f64 v[8:9], v[182:183], -v[186:187]
	v_add_f64 v[0:1], v[4:5], v[0:1]
	v_add_f64 v[4:5], v[182:183], v[186:187]
	v_fma_f64 v[182:183], v[4:5], s[38:39], -v[180:181]
	v_fma_f64 v[180:181], v[4:5], s[38:39], v[180:181]
	v_add_f64 v[37:38], v[182:183], v[37:38]
	v_mul_f64 v[182:183], v[8:9], s[34:35]
	v_add_f64 v[57:58], v[180:181], v[57:58]
	v_fma_f64 v[180:181], v[6:7], s[38:39], -v[182:183]
	v_fma_f64 v[184:185], v[6:7], s[38:39], v[182:183]
	v_add_f64 v[61:62], v[180:181], v[61:62]
	v_mul_f64 v[180:181], v[10:11], s[46:47]
	;; [unrolled: 5-line block ×5, first 2 shown]
	v_add_f64 v[180:181], v[180:181], v[188:189]
	v_mul_f64 v[188:189], v[10:11], s[58:59]
	v_fma_f64 v[186:187], v[6:7], s[6:7], v[182:183]
	v_fma_f64 v[182:183], v[6:7], s[6:7], -v[182:183]
	v_add_f64 v[186:187], v[186:187], v[194:195]
	v_add_f64 v[182:183], v[182:183], v[190:191]
	v_fma_f64 v[190:191], v[4:5], s[26:27], -v[188:189]
	v_add_f64 v[35:36], v[190:191], v[35:36]
	v_mul_f64 v[190:191], v[8:9], s[58:59]
	v_fma_f64 v[192:193], v[6:7], s[26:27], v[190:191]
	v_add_f64 v[192:193], v[192:193], v[25:26]
	v_fma_f64 v[25:26], v[4:5], s[26:27], v[188:189]
	v_add_f64 v[188:189], v[25:26], v[27:28]
	v_fma_f64 v[25:26], v[6:7], s[26:27], -v[190:191]
	v_add_f64 v[190:191], v[25:26], v[29:30]
	v_mul_f64 v[25:26], v[10:11], s[30:31]
	v_fma_f64 v[27:28], v[4:5], s[24:25], -v[25:26]
	v_fma_f64 v[25:26], v[4:5], s[24:25], v[25:26]
	v_add_f64 v[41:42], v[27:28], v[41:42]
	v_mul_f64 v[27:28], v[8:9], s[30:31]
	v_add_f64 v[196:197], v[25:26], v[196:197]
	v_fma_f64 v[25:26], v[6:7], s[24:25], -v[27:28]
	v_fma_f64 v[29:30], v[6:7], s[24:25], v[27:28]
	v_add_f64 v[198:199], v[25:26], v[198:199]
	v_mul_f64 v[25:26], v[10:11], s[44:45]
	v_add_f64 v[194:195], v[29:30], v[200:201]
	;; [unrolled: 5-line block ×3, first 2 shown]
	v_fma_f64 v[25:26], v[6:7], s[42:43], -v[27:28]
	v_fma_f64 v[29:30], v[6:7], s[42:43], v[27:28]
	v_add_f64 v[216:217], v[25:26], v[208:209]
	v_mul_f64 v[25:26], v[10:11], s[52:53]
	v_mul_f64 v[10:11], v[10:11], s[18:19]
	v_add_f64 v[214:215], v[29:30], v[210:211]
	v_fma_f64 v[27:28], v[4:5], s[22:23], -v[25:26]
	v_fma_f64 v[25:26], v[4:5], s[22:23], v[25:26]
	v_add_f64 v[51:52], v[27:28], v[51:52]
	v_mul_f64 v[27:28], v[8:9], s[52:53]
	v_add_f64 v[49:50], v[25:26], v[49:50]
	v_mul_f64 v[8:9], v[8:9], s[18:19]
	v_fma_f64 v[25:26], v[6:7], s[22:23], -v[27:28]
	v_fma_f64 v[29:30], v[6:7], s[22:23], v[27:28]
	v_mul_f64 v[27:28], v[226:227], s[34:35]
	v_add_f64 v[53:54], v[25:26], v[53:54]
	v_fma_f64 v[25:26], v[4:5], s[20:21], -v[10:11]
	v_fma_f64 v[4:5], v[4:5], s[20:21], v[10:11]
	v_mul_f64 v[10:11], v[226:227], s[48:49]
	v_add_f64 v[55:56], v[29:30], v[55:56]
	v_add_f64 v[212:213], v[25:26], v[212:213]
	v_fma_f64 v[25:26], v[6:7], s[20:21], v[8:9]
	v_add_f64 v[218:219], v[4:5], v[2:3]
	v_fma_f64 v[2:3], v[6:7], s[20:21], -v[8:9]
	v_mul_f64 v[4:5], v[13:14], s[44:45]
	v_mul_f64 v[6:7], v[226:227], s[44:45]
	;; [unrolled: 1-line block ×3, first 2 shown]
	v_add_f64 v[59:60], v[25:26], v[59:60]
	v_mul_f64 v[25:26], v[13:14], s[34:35]
	v_add_f64 v[220:221], v[2:3], v[0:1]
	v_fma_f64 v[0:1], v[222:223], s[42:43], -v[4:5]
	v_fma_f64 v[4:5], v[222:223], s[42:43], v[4:5]
	v_fma_f64 v[2:3], v[224:225], s[42:43], v[6:7]
	v_fma_f64 v[21:22], v[222:223], s[38:39], -v[25:26]
	v_fma_f64 v[25:26], v[222:223], s[38:39], v[25:26]
	v_add_f64 v[0:1], v[0:1], v[37:38]
	v_add_f64 v[208:209], v[4:5], v[57:58]
	v_fma_f64 v[4:5], v[224:225], s[42:43], -v[6:7]
	v_mul_f64 v[37:38], v[13:14], s[28:29]
	v_fma_f64 v[6:7], v[224:225], s[24:25], v[10:11]
	v_fma_f64 v[10:11], v[224:225], s[24:25], -v[10:11]
	v_add_f64 v[21:22], v[21:22], v[39:40]
	v_add_f64 v[25:26], v[25:26], v[180:181]
	;; [unrolled: 1-line block ×4, first 2 shown]
	v_fma_f64 v[4:5], v[222:223], s[24:25], -v[8:9]
	v_fma_f64 v[8:9], v[222:223], s[24:25], v[8:9]
	v_fma_f64 v[39:40], v[222:223], s[26:27], -v[37:38]
	v_fma_f64 v[37:38], v[222:223], s[26:27], v[37:38]
	v_add_f64 v[6:7], v[6:7], v[184:185]
	v_add_f64 v[10:11], v[10:11], v[23:24]
	v_fma_f64 v[23:24], v[224:225], s[38:39], v[27:28]
	v_fma_f64 v[27:28], v[224:225], s[38:39], -v[27:28]
	v_add_f64 v[4:5], v[4:5], v[33:34]
	v_add_f64 v[8:9], v[8:9], v[172:173]
	;; [unrolled: 1-line block ×3, first 2 shown]
	v_mul_f64 v[39:40], v[226:227], s[28:29]
	v_add_f64 v[176:177], v[37:38], v[196:197]
	v_mul_f64 v[33:34], v[13:14], s[52:53]
	v_add_f64 v[23:24], v[23:24], v[186:187]
	v_add_f64 v[27:28], v[27:28], v[182:183]
	v_fma_f64 v[37:38], v[224:225], s[26:27], -v[39:40]
	v_fma_f64 v[41:42], v[224:225], s[26:27], v[39:40]
	v_fma_f64 v[29:30], v[222:223], s[22:23], -v[33:34]
	v_fma_f64 v[33:34], v[222:223], s[22:23], v[33:34]
	v_add_f64 v[178:179], v[37:38], v[198:199]
	v_mul_f64 v[37:38], v[13:14], s[46:47]
	v_add_f64 v[29:30], v[29:30], v[35:36]
	v_mul_f64 v[35:36], v[226:227], s[52:53]
	v_add_f64 v[174:175], v[41:42], v[194:195]
	v_add_f64 v[33:34], v[33:34], v[188:189]
	v_fma_f64 v[39:40], v[222:223], s[16:17], -v[37:38]
	v_fma_f64 v[37:38], v[222:223], s[16:17], v[37:38]
	v_fma_f64 v[31:32], v[224:225], s[22:23], v[35:36]
	v_fma_f64 v[35:36], v[224:225], s[22:23], -v[35:36]
	v_add_f64 v[180:181], v[39:40], v[200:201]
	v_mul_f64 v[39:40], v[226:227], s[46:47]
	v_add_f64 v[184:185], v[37:38], v[202:203]
	v_add_f64 v[31:32], v[31:32], v[192:193]
	;; [unrolled: 1-line block ×3, first 2 shown]
	v_fma_f64 v[37:38], v[224:225], s[16:17], -v[39:40]
	v_fma_f64 v[41:42], v[224:225], s[16:17], v[39:40]
	v_add_f64 v[186:187], v[37:38], v[216:217]
	v_mul_f64 v[37:38], v[13:14], s[18:19]
	v_mul_f64 v[13:14], v[13:14], s[50:51]
	v_add_f64 v[182:183], v[41:42], v[214:215]
	v_fma_f64 v[39:40], v[222:223], s[20:21], -v[37:38]
	v_fma_f64 v[37:38], v[222:223], s[20:21], v[37:38]
	v_add_f64 v[188:189], v[39:40], v[51:52]
	v_mul_f64 v[39:40], v[226:227], s[18:19]
	v_add_f64 v[192:193], v[37:38], v[49:50]
	v_fma_f64 v[37:38], v[224:225], s[20:21], -v[39:40]
	v_fma_f64 v[41:42], v[224:225], s[20:21], v[39:40]
	v_add_f64 v[194:195], v[37:38], v[53:54]
	v_fma_f64 v[37:38], v[222:223], s[6:7], -v[13:14]
	v_fma_f64 v[13:14], v[222:223], s[6:7], v[13:14]
	v_add_f64 v[190:191], v[41:42], v[55:56]
	v_add_f64 v[196:197], v[37:38], v[212:213]
	v_mul_f64 v[37:38], v[226:227], s[50:51]
	v_add_f64 v[200:201], v[13:14], v[218:219]
	v_fma_f64 v[13:14], v[224:225], s[6:7], -v[37:38]
	v_fma_f64 v[39:40], v[224:225], s[6:7], v[37:38]
	v_add_f64 v[202:203], v[13:14], v[220:221]
	v_mov_b32_e32 v13, 0x242
	v_cndmask_b32_e32 v13, 0, v13, vcc
	v_add_u32_e32 v12, v12, v13
	v_add_f64 v[198:199], v[39:40], v[59:60]
	v_lshl_add_u32 v39, v12, 4, v45
	ds_write_b128 v39, v[168:171]
	ds_write_b128 v39, v[0:3] offset:544
	ds_write_b128 v39, v[4:7] offset:1088
	;; [unrolled: 1-line block ×16, first 2 shown]
	s_waitcnt lgkmcnt(0)
	s_barrier
	ds_read_b128 v[224:227], v44
	ds_read_b128 v[176:179], v44 offset:9248
	ds_read_b128 v[220:223], v44 offset:1088
	;; [unrolled: 1-line block ×15, first 2 shown]
	s_and_saveexec_b64 s[6:7], s[0:1]
	s_cbranch_execz .LBB0_7
; %bb.6:
	ds_read_b128 v[208:211], v44 offset:8704
	ds_read_b128 v[204:207], v44 offset:17952
	v_mov_b32_e32 v19, v17
	v_mov_b32_e32 v18, v16
.LBB0_7:
	s_or_b64 exec, exec, s[6:7]
	v_add_co_u32_e32 v31, vcc, s14, v48
	v_mov_b32_e32 v32, s15
	v_addc_co_u32_e32 v42, vcc, 0, v32, vcc
	s_movk_i32 s6, 0x2000
	v_add_co_u32_e32 v16, vcc, s6, v31
	v_addc_co_u32_e32 v17, vcc, 0, v42, vcc
	global_load_dwordx4 v[172:175], v[16:17], off offset:784
	s_movk_i32 s7, 0x3000
	s_movk_i32 s12, 0x4000
	s_waitcnt vmcnt(0) lgkmcnt(14)
	v_mul_f64 v[21:22], v[178:179], v[174:175]
	v_mul_f64 v[23:24], v[176:177], v[174:175]
	v_fma_f64 v[21:22], v[176:177], v[172:173], -v[21:22]
	v_fma_f64 v[23:24], v[178:179], v[172:173], v[23:24]
	global_load_dwordx4 v[176:179], v[16:17], off offset:1872
	s_waitcnt vmcnt(0) lgkmcnt(12)
	v_mul_f64 v[25:26], v[182:183], v[178:179]
	v_mul_f64 v[27:28], v[180:181], v[178:179]
	v_fma_f64 v[25:26], v[180:181], v[176:177], -v[25:26]
	v_fma_f64 v[27:28], v[182:183], v[176:177], v[27:28]
	global_load_dwordx4 v[180:183], v[16:17], off offset:2960
	v_add_f64 v[25:26], v[220:221], -v[25:26]
	v_add_f64 v[27:28], v[222:223], -v[27:28]
	s_waitcnt vmcnt(0) lgkmcnt(10)
	v_mul_f64 v[29:30], v[186:187], v[182:183]
	v_fma_f64 v[33:34], v[184:185], v[180:181], -v[29:30]
	v_mul_f64 v[29:30], v[184:185], v[182:183]
	v_add_f64 v[33:34], v[216:217], -v[33:34]
	v_fma_f64 v[35:36], v[186:187], v[180:181], v[29:30]
	global_load_dwordx4 v[184:187], v[16:17], off offset:4048
	v_fma_f64 v[48:49], v[216:217], 2.0, -v[33:34]
	v_add_f64 v[35:36], v[218:219], -v[35:36]
	v_fma_f64 v[50:51], v[218:219], 2.0, -v[35:36]
	s_waitcnt vmcnt(0) lgkmcnt(8)
	v_mul_f64 v[16:17], v[190:191], v[186:187]
	v_fma_f64 v[37:38], v[188:189], v[184:185], -v[16:17]
	v_mul_f64 v[16:17], v[188:189], v[186:187]
	v_add_f64 v[216:217], v[212:213], -v[37:38]
	v_fma_f64 v[40:41], v[190:191], v[184:185], v[16:17]
	v_add_co_u32_e32 v16, vcc, s7, v31
	v_addc_co_u32_e32 v17, vcc, 0, v42, vcc
	global_load_dwordx4 v[188:191], v[16:17], off offset:1040
	v_fma_f64 v[212:213], v[212:213], 2.0, -v[216:217]
	v_add_f64 v[218:219], v[214:215], -v[40:41]
	v_lshl_add_u32 v40, v43, 4, v45
	v_fma_f64 v[214:215], v[214:215], 2.0, -v[218:219]
	s_waitcnt vmcnt(0) lgkmcnt(6)
	v_mul_f64 v[29:30], v[194:195], v[190:191]
	v_fma_f64 v[52:53], v[192:193], v[188:189], -v[29:30]
	v_mul_f64 v[29:30], v[192:193], v[190:191]
	v_fma_f64 v[54:55], v[194:195], v[188:189], v[29:30]
	global_load_dwordx4 v[192:195], v[16:17], off offset:2128
	s_waitcnt vmcnt(0) lgkmcnt(4)
	v_mul_f64 v[29:30], v[198:199], v[194:195]
	v_fma_f64 v[56:57], v[196:197], v[192:193], -v[29:30]
	v_mul_f64 v[29:30], v[196:197], v[194:195]
	v_fma_f64 v[58:59], v[198:199], v[192:193], v[29:30]
	global_load_dwordx4 v[196:199], v[16:17], off offset:3216
	s_waitcnt vmcnt(0) lgkmcnt(2)
	v_mul_f64 v[16:17], v[202:203], v[198:199]
	v_fma_f64 v[60:61], v[200:201], v[196:197], -v[16:17]
	v_mul_f64 v[16:17], v[200:201], v[198:199]
	v_add_f64 v[228:229], v[4:5], -v[60:61]
	v_fma_f64 v[62:63], v[202:203], v[196:197], v[16:17]
	v_add_co_u32_e32 v16, vcc, s12, v31
	v_addc_co_u32_e32 v17, vcc, 0, v42, vcc
	global_load_dwordx4 v[200:203], v[16:17], off offset:208
	v_fma_f64 v[4:5], v[4:5], 2.0, -v[228:229]
	v_add_f64 v[230:231], v[6:7], -v[62:63]
	v_fma_f64 v[6:7], v[6:7], 2.0, -v[230:231]
	s_waitcnt vmcnt(0) lgkmcnt(0)
	v_mul_f64 v[16:17], v[170:171], v[202:203]
	v_fma_f64 v[232:233], v[168:169], v[200:201], -v[16:17]
	v_mul_f64 v[16:17], v[168:169], v[202:203]
	v_add_f64 v[232:233], v[0:1], -v[232:233]
	v_fma_f64 v[234:235], v[170:171], v[200:201], v[16:17]
	v_lshlrev_b64 v[16:17], 4, v[18:19]
	v_add_f64 v[18:19], v[226:227], -v[23:24]
	v_add_co_u32_e32 v16, vcc, s14, v16
	v_addc_co_u32_e32 v17, vcc, v32, v17, vcc
	v_add_co_u32_e32 v16, vcc, s6, v16
	v_addc_co_u32_e32 v17, vcc, 0, v17, vcc
	global_load_dwordx4 v[29:32], v[16:17], off offset:784
	v_fma_f64 v[23:24], v[226:227], 2.0, -v[18:19]
	v_add_f64 v[226:227], v[10:11], -v[58:59]
	v_add_f64 v[234:235], v[2:3], -v[234:235]
	v_fma_f64 v[0:1], v[0:1], 2.0, -v[232:233]
	v_fma_f64 v[10:11], v[10:11], 2.0, -v[226:227]
	;; [unrolled: 1-line block ×3, first 2 shown]
	s_waitcnt vmcnt(0)
	v_mul_f64 v[16:17], v[206:207], v[31:32]
	v_fma_f64 v[236:237], v[204:205], v[29:30], -v[16:17]
	v_mul_f64 v[16:17], v[204:205], v[31:32]
	buffer_store_dword v29, off, s[60:63], 0 offset:388 ; 4-byte Folded Spill
	s_nop 0
	buffer_store_dword v30, off, s[60:63], 0 offset:392 ; 4-byte Folded Spill
	buffer_store_dword v31, off, s[60:63], 0 offset:396 ; 4-byte Folded Spill
	;; [unrolled: 1-line block ×3, first 2 shown]
	v_fma_f64 v[31:32], v[222:223], 2.0, -v[27:28]
	v_add_f64 v[222:223], v[14:15], -v[54:55]
	v_add_f64 v[204:205], v[208:209], -v[236:237]
	v_fma_f64 v[14:15], v[14:15], 2.0, -v[222:223]
	v_fma_f64 v[206:207], v[206:207], v[29:30], v[16:17]
	v_add_f64 v[16:17], v[224:225], -v[21:22]
	v_fma_f64 v[29:30], v[220:221], 2.0, -v[25:26]
	v_add_f64 v[220:221], v[12:13], -v[52:53]
	v_add_f64 v[206:207], v[210:211], -v[206:207]
	v_fma_f64 v[21:22], v[224:225], 2.0, -v[16:17]
	v_add_f64 v[224:225], v[8:9], -v[56:57]
	v_fma_f64 v[12:13], v[12:13], 2.0, -v[220:221]
	ds_write_b128 v44, v[21:24]
	v_fma_f64 v[8:9], v[8:9], 2.0, -v[224:225]
	ds_write_b128 v40, v[16:19] offset:9248
	ds_write_b128 v44, v[29:32] offset:1088
	ds_write_b128 v40, v[25:28] offset:10336
	ds_write_b128 v44, v[48:51] offset:2176
	ds_write_b128 v40, v[33:36] offset:11424
	ds_write_b128 v44, v[212:215] offset:3264
	ds_write_b128 v40, v[216:219] offset:12512
	ds_write_b128 v44, v[12:15] offset:4352
	ds_write_b128 v40, v[220:223] offset:13600
	ds_write_b128 v44, v[8:11] offset:5440
	ds_write_b128 v40, v[224:227] offset:14688
	ds_write_b128 v44, v[4:7] offset:6528
	ds_write_b128 v44, v[228:231] offset:15776
	ds_write_b128 v44, v[0:3] offset:7616
	ds_write_b128 v44, v[232:235] offset:16864
	s_and_saveexec_b64 s[6:7], s[0:1]
	s_cbranch_execz .LBB0_9
; %bb.8:
	v_fma_f64 v[2:3], v[210:211], 2.0, -v[206:207]
	v_fma_f64 v[0:1], v[208:209], 2.0, -v[204:205]
	ds_write_b128 v44, v[0:3] offset:8704
	ds_write_b128 v40, v[204:207] offset:17952
.LBB0_9:
	s_or_b64 exec, exec, s[6:7]
	v_mov_b32_e32 v0, s13
	v_addc_co_u32_e64 v0, vcc, 0, v0, s[2:3]
	s_movk_i32 s2, 0x4840
	v_add_co_u32_e32 v13, vcc, s2, v47
	v_addc_co_u32_e32 v14, vcc, 0, v0, vcc
	v_add_co_u32_e32 v5, vcc, s12, v47
	v_addc_co_u32_e32 v6, vcc, 0, v0, vcc
	s_waitcnt vmcnt(0) lgkmcnt(0)
	s_barrier
	global_load_dwordx4 v[5:8], v[5:6], off offset:2112
	ds_read_b128 v[1:4], v44
	s_movk_i32 s2, 0x5000
	s_mov_b32 s26, 0x5d8e7cdc
	s_mov_b32 s20, 0x2a9d6da3
	;; [unrolled: 1-line block ×45, first 2 shown]
	s_waitcnt vmcnt(0) lgkmcnt(0)
	v_mul_f64 v[9:10], v[3:4], v[7:8]
	v_fma_f64 v[9:10], v[1:2], v[5:6], -v[9:10]
	v_mul_f64 v[1:2], v[1:2], v[7:8]
	v_fma_f64 v[11:12], v[3:4], v[5:6], v[1:2]
	global_load_dwordx4 v[5:8], v[13:14], off offset:1088
	ds_read_b128 v[1:4], v44 offset:1088
	ds_write_b128 v44, v[9:12]
	s_waitcnt vmcnt(0) lgkmcnt(1)
	v_mul_f64 v[9:10], v[3:4], v[7:8]
	v_fma_f64 v[9:10], v[1:2], v[5:6], -v[9:10]
	v_mul_f64 v[1:2], v[1:2], v[7:8]
	v_fma_f64 v[11:12], v[3:4], v[5:6], v[1:2]
	global_load_dwordx4 v[5:8], v[13:14], off offset:2176
	ds_read_b128 v[1:4], v44 offset:2176
	ds_write_b128 v44, v[9:12] offset:1088
	s_waitcnt vmcnt(0) lgkmcnt(1)
	v_mul_f64 v[9:10], v[3:4], v[7:8]
	v_fma_f64 v[9:10], v[1:2], v[5:6], -v[9:10]
	v_mul_f64 v[1:2], v[1:2], v[7:8]
	v_fma_f64 v[11:12], v[3:4], v[5:6], v[1:2]
	global_load_dwordx4 v[5:8], v[13:14], off offset:3264
	ds_read_b128 v[1:4], v44 offset:3264
	v_add_co_u32_e32 v13, vcc, s2, v47
	v_addc_co_u32_e32 v14, vcc, 0, v0, vcc
	s_movk_i32 s2, 0x6000
	ds_write_b128 v44, v[9:12] offset:2176
	s_waitcnt vmcnt(0) lgkmcnt(1)
	v_mul_f64 v[9:10], v[3:4], v[7:8]
	v_fma_f64 v[9:10], v[1:2], v[5:6], -v[9:10]
	v_mul_f64 v[1:2], v[1:2], v[7:8]
	v_fma_f64 v[11:12], v[3:4], v[5:6], v[1:2]
	global_load_dwordx4 v[5:8], v[13:14], off offset:2368
	ds_read_b128 v[1:4], v44 offset:4352
	ds_write_b128 v44, v[9:12] offset:3264
	s_waitcnt vmcnt(0) lgkmcnt(1)
	v_mul_f64 v[9:10], v[3:4], v[7:8]
	v_fma_f64 v[9:10], v[1:2], v[5:6], -v[9:10]
	v_mul_f64 v[1:2], v[1:2], v[7:8]
	v_fma_f64 v[11:12], v[3:4], v[5:6], v[1:2]
	global_load_dwordx4 v[5:8], v[13:14], off offset:3456
	ds_read_b128 v[1:4], v44 offset:5440
	v_add_co_u32_e32 v13, vcc, s2, v47
	v_addc_co_u32_e32 v14, vcc, 0, v0, vcc
	s_movk_i32 s2, 0x7000
	ds_write_b128 v44, v[9:12] offset:4352
	s_waitcnt vmcnt(0) lgkmcnt(1)
	v_mul_f64 v[9:10], v[3:4], v[7:8]
	v_fma_f64 v[9:10], v[1:2], v[5:6], -v[9:10]
	v_mul_f64 v[1:2], v[1:2], v[7:8]
	v_fma_f64 v[11:12], v[3:4], v[5:6], v[1:2]
	global_load_dwordx4 v[5:8], v[13:14], off offset:448
	ds_read_b128 v[1:4], v44 offset:6528
	ds_write_b128 v44, v[9:12] offset:5440
	s_waitcnt vmcnt(0) lgkmcnt(1)
	v_mul_f64 v[9:10], v[3:4], v[7:8]
	v_fma_f64 v[9:10], v[1:2], v[5:6], -v[9:10]
	v_mul_f64 v[1:2], v[1:2], v[7:8]
	v_fma_f64 v[11:12], v[3:4], v[5:6], v[1:2]
	global_load_dwordx4 v[5:8], v[13:14], off offset:1536
	ds_read_b128 v[1:4], v44 offset:7616
	;; [unrolled: 8-line block ×4, first 2 shown]
	v_add_co_u32_e32 v13, vcc, s2, v47
	v_addc_co_u32_e32 v14, vcc, 0, v0, vcc
	s_mov_b32 s2, 0x8000
	ds_write_b128 v44, v[9:12] offset:8704
	s_waitcnt vmcnt(0) lgkmcnt(1)
	v_mul_f64 v[9:10], v[3:4], v[7:8]
	v_fma_f64 v[9:10], v[1:2], v[5:6], -v[9:10]
	v_mul_f64 v[1:2], v[1:2], v[7:8]
	v_fma_f64 v[11:12], v[3:4], v[5:6], v[1:2]
	global_load_dwordx4 v[5:8], v[13:14], off offset:704
	ds_read_b128 v[1:4], v44 offset:10880
	ds_write_b128 v44, v[9:12] offset:9792
	s_waitcnt vmcnt(0) lgkmcnt(1)
	v_mul_f64 v[9:10], v[3:4], v[7:8]
	v_fma_f64 v[9:10], v[1:2], v[5:6], -v[9:10]
	v_mul_f64 v[1:2], v[1:2], v[7:8]
	v_fma_f64 v[11:12], v[3:4], v[5:6], v[1:2]
	global_load_dwordx4 v[5:8], v[13:14], off offset:1792
	ds_read_b128 v[1:4], v44 offset:11968
	;; [unrolled: 8-line block ×4, first 2 shown]
	v_add_co_u32_e32 v13, vcc, s2, v47
	v_addc_co_u32_e32 v14, vcc, 0, v0, vcc
	s_mov_b32 s2, 0xeb564b22
	ds_write_b128 v44, v[9:12] offset:13056
	s_mov_b32 s3, 0xbfefdd0d
	s_mov_b32 s12, s2
	s_waitcnt vmcnt(0) lgkmcnt(1)
	v_mul_f64 v[9:10], v[3:4], v[7:8]
	v_fma_f64 v[9:10], v[1:2], v[5:6], -v[9:10]
	v_mul_f64 v[1:2], v[1:2], v[7:8]
	v_fma_f64 v[11:12], v[3:4], v[5:6], v[1:2]
	global_load_dwordx4 v[5:8], v[13:14], off offset:960
	ds_read_b128 v[1:4], v44 offset:15232
	ds_write_b128 v44, v[9:12] offset:14144
	s_waitcnt vmcnt(0) lgkmcnt(1)
	v_mul_f64 v[9:10], v[3:4], v[7:8]
	v_fma_f64 v[9:10], v[1:2], v[5:6], -v[9:10]
	v_mul_f64 v[0:1], v[1:2], v[7:8]
	v_fma_f64 v[11:12], v[3:4], v[5:6], v[0:1]
	global_load_dwordx4 v[4:7], v[13:14], off offset:2048
	ds_read_b128 v[0:3], v44 offset:16320
	ds_write_b128 v44, v[9:12] offset:15232
	s_waitcnt vmcnt(0) lgkmcnt(1)
	v_mul_f64 v[8:9], v[2:3], v[6:7]
	v_fma_f64 v[8:9], v[0:1], v[4:5], -v[8:9]
	v_mul_f64 v[0:1], v[0:1], v[6:7]
	v_fma_f64 v[10:11], v[2:3], v[4:5], v[0:1]
	global_load_dwordx4 v[4:7], v[13:14], off offset:3136
	ds_read_b128 v[0:3], v44 offset:17408
	ds_write_b128 v44, v[8:11] offset:16320
	s_waitcnt vmcnt(0) lgkmcnt(1)
	v_mul_f64 v[8:9], v[2:3], v[6:7]
	v_fma_f64 v[8:9], v[0:1], v[4:5], -v[8:9]
	v_mul_f64 v[0:1], v[0:1], v[6:7]
	v_fma_f64 v[10:11], v[2:3], v[4:5], v[0:1]
	ds_write_b128 v44, v[8:11] offset:17408
	s_waitcnt lgkmcnt(0)
	s_barrier
	ds_read_b128 v[12:15], v44
	ds_read_b128 v[16:19], v44 offset:1088
	ds_read_b128 v[4:7], v44 offset:2176
	;; [unrolled: 1-line block ×16, first 2 shown]
	s_waitcnt lgkmcnt(14)
	v_add_f64 v[25:26], v[12:13], v[16:17]
	v_add_f64 v[27:28], v[14:15], v[18:19]
	;; [unrolled: 1-line block ×4, first 2 shown]
	s_waitcnt lgkmcnt(13)
	v_add_f64 v[25:26], v[25:26], v[252:253]
	v_add_f64 v[27:28], v[27:28], v[254:255]
	s_waitcnt lgkmcnt(12)
	v_add_f64 v[25:26], v[25:26], v[244:245]
	v_add_f64 v[27:28], v[27:28], v[246:247]
	;; [unrolled: 3-line block ×14, first 2 shown]
	buffer_store_dword v25, off, s[60:63], 0 offset:372 ; 4-byte Folded Spill
	s_nop 0
	buffer_store_dword v26, off, s[60:63], 0 offset:376 ; 4-byte Folded Spill
	buffer_store_dword v27, off, s[60:63], 0 offset:380 ; 4-byte Folded Spill
	buffer_store_dword v28, off, s[60:63], 0 offset:384 ; 4-byte Folded Spill
	v_add_f64 v[27:28], v[18:19], v[23:24]
	v_add_f64 v[18:19], v[18:19], -v[23:24]
	v_add_f64 v[25:26], v[16:17], v[21:22]
	v_add_f64 v[16:17], v[16:17], -v[21:22]
	s_waitcnt vmcnt(0)
	s_barrier
	v_mul_f64 v[29:30], v[27:28], s[30:31]
	v_mul_f64 v[21:22], v[18:19], s[26:27]
	;; [unrolled: 1-line block ×9, first 2 shown]
	v_fma_f64 v[23:24], v[25:26], s[30:31], v[21:22]
	v_fma_f64 v[21:22], v[25:26], s[30:31], -v[21:22]
	v_fma_f64 v[35:36], v[25:26], s[24:25], v[33:34]
	v_mul_f64 v[37:38], v[27:28], s[24:25]
	v_fma_f64 v[33:34], v[25:26], s[24:25], -v[33:34]
	v_fma_f64 v[49:50], v[25:26], s[14:15], v[47:48]
	v_mul_f64 v[51:52], v[27:28], s[14:15]
	;; [unrolled: 3-line block ×7, first 2 shown]
	v_fma_f64 v[18:19], v[25:26], s[54:55], -v[18:19]
	v_add_f64 v[23:24], v[12:13], v[23:24]
	v_fma_f64 v[31:32], v[16:17], s[38:39], v[29:30]
	v_add_f64 v[21:22], v[12:13], v[21:22]
	v_fma_f64 v[29:30], v[16:17], s[26:27], v[29:30]
	;; [unrolled: 2-line block ×16, first 2 shown]
	v_add_f64 v[18:19], v[6:7], v[10:11]
	v_add_f64 v[6:7], v[6:7], -v[10:11]
	v_add_f64 v[31:32], v[14:15], v[31:32]
	v_add_f64 v[29:30], v[14:15], v[29:30]
	;; [unrolled: 1-line block ×17, first 2 shown]
	v_add_f64 v[4:5], v[4:5], -v[8:9]
	v_mul_f64 v[8:9], v[6:7], s[20:21]
	v_fma_f64 v[10:11], v[16:17], s[24:25], v[8:9]
	v_fma_f64 v[8:9], v[16:17], s[24:25], -v[8:9]
	v_add_f64 v[10:11], v[10:11], v[23:24]
	v_mul_f64 v[23:24], v[18:19], s[24:25]
	v_add_f64 v[8:9], v[8:9], v[21:22]
	v_fma_f64 v[25:26], v[4:5], s[34:35], v[23:24]
	v_fma_f64 v[21:22], v[4:5], s[20:21], v[23:24]
	v_mul_f64 v[23:24], v[6:7], s[2:3]
	v_add_f64 v[25:26], v[25:26], v[31:32]
	v_add_f64 v[21:22], v[21:22], v[29:30]
	v_fma_f64 v[27:28], v[16:17], s[6:7], v[23:24]
	v_fma_f64 v[23:24], v[16:17], s[6:7], -v[23:24]
	v_mul_f64 v[29:30], v[18:19], s[6:7]
	v_add_f64 v[27:28], v[27:28], v[35:36]
	v_add_f64 v[23:24], v[23:24], v[33:34]
	v_mul_f64 v[33:34], v[6:7], s[40:41]
	v_fma_f64 v[31:32], v[4:5], s[12:13], v[29:30]
	v_fma_f64 v[29:30], v[4:5], s[2:3], v[29:30]
	v_fma_f64 v[35:36], v[16:17], s[42:43], v[33:34]
	v_fma_f64 v[33:34], v[16:17], s[42:43], -v[33:34]
	v_add_f64 v[29:30], v[29:30], v[37:38]
	v_mul_f64 v[37:38], v[18:19], s[42:43]
	v_add_f64 v[31:32], v[31:32], v[41:42]
	v_add_f64 v[35:36], v[35:36], v[49:50]
	v_add_f64 v[33:34], v[33:34], v[47:48]
	v_mul_f64 v[47:48], v[6:7], s[52:53]
	v_fma_f64 v[41:42], v[4:5], s[44:45], v[37:38]
	v_fma_f64 v[37:38], v[4:5], s[40:41], v[37:38]
	v_fma_f64 v[49:50], v[16:17], s[54:55], v[47:48]
	v_fma_f64 v[47:48], v[16:17], s[54:55], -v[47:48]
	v_add_f64 v[37:38], v[37:38], v[51:52]
	v_mul_f64 v[51:52], v[18:19], s[54:55]
	v_add_f64 v[41:42], v[41:42], v[53:54]
	v_add_f64 v[49:50], v[49:50], v[57:58]
	v_add_f64 v[47:48], v[47:48], v[55:56]
	v_mul_f64 v[55:56], v[6:7], s[50:51]
	v_fma_f64 v[53:54], v[4:5], s[56:57], v[51:52]
	v_fma_f64 v[51:52], v[4:5], s[52:53], v[51:52]
	v_fma_f64 v[57:58], v[16:17], s[48:49], v[55:56]
	v_fma_f64 v[55:56], v[16:17], s[48:49], -v[55:56]
	v_add_f64 v[51:52], v[51:52], v[59:60]
	v_mul_f64 v[59:60], v[18:19], s[48:49]
	v_add_f64 v[53:54], v[53:54], v[61:62]
	v_add_f64 v[57:58], v[57:58], v[65:66]
	v_add_f64 v[55:56], v[55:56], v[63:64]
	v_mul_f64 v[63:64], v[6:7], s[36:37]
	v_fma_f64 v[61:62], v[4:5], s[46:47], v[59:60]
	v_fma_f64 v[59:60], v[4:5], s[50:51], v[59:60]
	;; [unrolled: 1-line block ×3, first 2 shown]
	v_fma_f64 v[63:64], v[16:17], s[28:29], -v[63:64]
	v_add_f64 v[59:60], v[59:60], v[168:169]
	v_add_f64 v[61:62], v[61:62], v[170:171]
	;; [unrolled: 1-line block ×4, first 2 shown]
	v_mul_f64 v[69:70], v[18:19], s[28:29]
	v_add_f64 v[63:64], v[63:64], v[67:68]
	v_fma_f64 v[168:169], v[4:5], s[22:23], v[69:70]
	v_fma_f64 v[67:68], v[4:5], s[36:37], v[69:70]
	v_mul_f64 v[69:70], v[6:7], s[18:19]
	v_mul_f64 v[6:7], v[6:7], s[38:39]
	v_add_f64 v[73:74], v[168:169], v[73:74]
	v_add_f64 v[67:68], v[67:68], v[71:72]
	v_fma_f64 v[71:72], v[16:17], s[14:15], v[69:70]
	v_fma_f64 v[69:70], v[16:17], s[14:15], -v[69:70]
	v_add_f64 v[71:72], v[71:72], v[77:78]
	v_mul_f64 v[77:78], v[18:19], s[14:15]
	v_add_f64 v[69:70], v[69:70], v[75:76]
	v_mul_f64 v[18:19], v[18:19], s[30:31]
	v_fma_f64 v[75:76], v[4:5], s[18:19], v[77:78]
	v_fma_f64 v[168:169], v[4:5], s[16:17], v[77:78]
	;; [unrolled: 1-line block ×3, first 2 shown]
	v_fma_f64 v[6:7], v[16:17], s[30:31], -v[6:7]
	v_add_f64 v[75:76], v[75:76], v[79:80]
	v_fma_f64 v[79:80], v[4:5], s[26:27], v[18:19]
	v_fma_f64 v[4:5], v[4:5], s[38:39], v[18:19]
	v_add_f64 v[6:7], v[6:7], v[12:13]
	v_add_f64 v[12:13], v[252:253], v[0:1]
	v_add_f64 v[0:1], v[252:253], -v[0:1]
	v_add_f64 v[81:82], v[168:169], v[81:82]
	v_add_f64 v[77:78], v[77:78], v[208:209]
	v_add_f64 v[208:209], v[212:213], -v[216:217]
	v_add_f64 v[79:80], v[79:80], v[210:211]
	v_add_f64 v[4:5], v[4:5], v[14:15]
	;; [unrolled: 1-line block ×3, first 2 shown]
	v_add_f64 v[2:3], v[254:255], -v[2:3]
	v_add_f64 v[210:211], v[214:215], -v[218:219]
	v_mul_f64 v[16:17], v[2:3], s[16:17]
	v_fma_f64 v[18:19], v[12:13], s[14:15], v[16:17]
	v_fma_f64 v[16:17], v[12:13], s[14:15], -v[16:17]
	v_add_f64 v[10:11], v[18:19], v[10:11]
	v_mul_f64 v[18:19], v[14:15], s[14:15]
	v_add_f64 v[8:9], v[16:17], v[8:9]
	v_fma_f64 v[168:169], v[0:1], s[18:19], v[18:19]
	v_fma_f64 v[16:17], v[0:1], s[16:17], v[18:19]
	v_mul_f64 v[18:19], v[2:3], s[40:41]
	v_add_f64 v[25:26], v[168:169], v[25:26]
	v_add_f64 v[16:17], v[16:17], v[21:22]
	v_fma_f64 v[21:22], v[12:13], s[42:43], v[18:19]
	v_fma_f64 v[18:19], v[12:13], s[42:43], -v[18:19]
	v_add_f64 v[21:22], v[21:22], v[27:28]
	v_mul_f64 v[27:28], v[14:15], s[42:43]
	v_add_f64 v[18:19], v[18:19], v[23:24]
	v_fma_f64 v[168:169], v[0:1], s[44:45], v[27:28]
	v_fma_f64 v[23:24], v[0:1], s[40:41], v[27:28]
	v_mul_f64 v[27:28], v[2:3], s[56:57]
	v_add_f64 v[31:32], v[168:169], v[31:32]
	v_add_f64 v[23:24], v[23:24], v[29:30]
	v_fma_f64 v[29:30], v[12:13], s[54:55], v[27:28]
	v_fma_f64 v[27:28], v[12:13], s[54:55], -v[27:28]
	v_add_f64 v[29:30], v[29:30], v[35:36]
	v_mul_f64 v[35:36], v[14:15], s[54:55]
	v_add_f64 v[27:28], v[27:28], v[33:34]
	v_fma_f64 v[168:169], v[0:1], s[52:53], v[35:36]
	v_fma_f64 v[33:34], v[0:1], s[56:57], v[35:36]
	v_mul_f64 v[35:36], v[2:3], s[36:37]
	v_add_f64 v[41:42], v[168:169], v[41:42]
	v_add_f64 v[33:34], v[33:34], v[37:38]
	v_fma_f64 v[37:38], v[12:13], s[28:29], v[35:36]
	v_fma_f64 v[35:36], v[12:13], s[28:29], -v[35:36]
	v_add_f64 v[37:38], v[37:38], v[49:50]
	v_mul_f64 v[49:50], v[14:15], s[28:29]
	v_add_f64 v[35:36], v[35:36], v[47:48]
	v_fma_f64 v[168:169], v[0:1], s[22:23], v[49:50]
	v_fma_f64 v[47:48], v[0:1], s[36:37], v[49:50]
	v_mul_f64 v[49:50], v[2:3], s[34:35]
	v_add_f64 v[53:54], v[168:169], v[53:54]
	v_add_f64 v[47:48], v[47:48], v[51:52]
	v_fma_f64 v[51:52], v[12:13], s[24:25], v[49:50]
	v_fma_f64 v[49:50], v[12:13], s[24:25], -v[49:50]
	v_add_f64 v[51:52], v[51:52], v[57:58]
	v_mul_f64 v[57:58], v[14:15], s[24:25]
	v_add_f64 v[49:50], v[49:50], v[55:56]
	v_fma_f64 v[168:169], v[0:1], s[20:21], v[57:58]
	v_fma_f64 v[55:56], v[0:1], s[34:35], v[57:58]
	v_mul_f64 v[57:58], v[2:3], s[26:27]
	v_add_f64 v[61:62], v[168:169], v[61:62]
	v_add_f64 v[55:56], v[55:56], v[59:60]
	v_fma_f64 v[59:60], v[12:13], s[30:31], v[57:58]
	v_fma_f64 v[57:58], v[12:13], s[30:31], -v[57:58]
	v_add_f64 v[59:60], v[59:60], v[65:66]
	v_mul_f64 v[65:66], v[14:15], s[30:31]
	v_add_f64 v[57:58], v[57:58], v[63:64]
	v_fma_f64 v[168:169], v[0:1], s[38:39], v[65:66]
	v_fma_f64 v[63:64], v[0:1], s[26:27], v[65:66]
	v_mul_f64 v[65:66], v[2:3], s[2:3]
	v_mul_f64 v[2:3], v[2:3], s[46:47]
	v_add_f64 v[73:74], v[168:169], v[73:74]
	v_add_f64 v[63:64], v[63:64], v[67:68]
	v_fma_f64 v[67:68], v[12:13], s[6:7], v[65:66]
	v_fma_f64 v[65:66], v[12:13], s[6:7], -v[65:66]
	v_add_f64 v[67:68], v[67:68], v[71:72]
	v_mul_f64 v[71:72], v[14:15], s[6:7]
	v_add_f64 v[65:66], v[65:66], v[69:70]
	v_mul_f64 v[14:15], v[14:15], s[48:49]
	v_fma_f64 v[69:70], v[0:1], s[2:3], v[71:72]
	v_fma_f64 v[168:169], v[0:1], s[12:13], v[71:72]
	;; [unrolled: 1-line block ×3, first 2 shown]
	v_fma_f64 v[2:3], v[12:13], s[48:49], -v[2:3]
	v_add_f64 v[12:13], v[244:245], -v[248:249]
	v_add_f64 v[69:70], v[69:70], v[75:76]
	v_fma_f64 v[75:76], v[0:1], s[50:51], v[14:15]
	v_fma_f64 v[0:1], v[0:1], s[46:47], v[14:15]
	v_add_f64 v[14:15], v[246:247], -v[250:251]
	v_add_f64 v[71:72], v[71:72], v[77:78]
	v_add_f64 v[2:3], v[2:3], v[6:7]
	;; [unrolled: 1-line block ×7, first 2 shown]
	v_mul_f64 v[77:78], v[14:15], s[2:3]
	v_fma_f64 v[79:80], v[4:5], s[6:7], v[77:78]
	v_fma_f64 v[77:78], v[4:5], s[6:7], -v[77:78]
	v_add_f64 v[10:11], v[79:80], v[10:11]
	v_mul_f64 v[79:80], v[6:7], s[6:7]
	v_add_f64 v[8:9], v[77:78], v[8:9]
	v_fma_f64 v[77:78], v[12:13], s[2:3], v[79:80]
	v_fma_f64 v[168:169], v[12:13], s[12:13], v[79:80]
	v_add_f64 v[16:17], v[77:78], v[16:17]
	v_mul_f64 v[77:78], v[14:15], s[52:53]
	v_add_f64 v[25:26], v[168:169], v[25:26]
	v_fma_f64 v[79:80], v[4:5], s[54:55], v[77:78]
	v_fma_f64 v[77:78], v[4:5], s[54:55], -v[77:78]
	v_add_f64 v[21:22], v[79:80], v[21:22]
	v_mul_f64 v[79:80], v[6:7], s[54:55]
	v_add_f64 v[18:19], v[77:78], v[18:19]
	v_fma_f64 v[77:78], v[12:13], s[52:53], v[79:80]
	v_fma_f64 v[168:169], v[12:13], s[56:57], v[79:80]
	v_add_f64 v[23:24], v[77:78], v[23:24]
	v_mul_f64 v[77:78], v[14:15], s[36:37]
	v_add_f64 v[31:32], v[168:169], v[31:32]
	;; [unrolled: 10-line block ×5, first 2 shown]
	v_fma_f64 v[79:80], v[4:5], s[48:49], v[77:78]
	v_fma_f64 v[77:78], v[4:5], s[48:49], -v[77:78]
	v_add_f64 v[59:60], v[79:80], v[59:60]
	v_mul_f64 v[79:80], v[6:7], s[48:49]
	v_add_f64 v[57:58], v[77:78], v[57:58]
	v_fma_f64 v[77:78], v[12:13], s[46:47], v[79:80]
	v_fma_f64 v[168:169], v[12:13], s[50:51], v[79:80]
	v_add_f64 v[63:64], v[77:78], v[63:64]
	v_mul_f64 v[77:78], v[14:15], s[44:45]
	v_mul_f64 v[14:15], v[14:15], s[34:35]
	v_add_f64 v[73:74], v[168:169], v[73:74]
	v_fma_f64 v[79:80], v[4:5], s[42:43], v[77:78]
	v_fma_f64 v[77:78], v[4:5], s[42:43], -v[77:78]
	v_add_f64 v[67:68], v[79:80], v[67:68]
	v_mul_f64 v[79:80], v[6:7], s[42:43]
	v_add_f64 v[65:66], v[77:78], v[65:66]
	v_mul_f64 v[6:7], v[6:7], s[24:25]
	v_fma_f64 v[77:78], v[12:13], s[44:45], v[79:80]
	v_fma_f64 v[168:169], v[12:13], s[40:41], v[79:80]
	v_add_f64 v[69:70], v[77:78], v[69:70]
	v_fma_f64 v[77:78], v[4:5], s[24:25], v[14:15]
	v_fma_f64 v[4:5], v[4:5], s[24:25], -v[14:15]
	v_add_f64 v[14:15], v[238:239], -v[242:243]
	v_add_f64 v[81:82], v[168:169], v[81:82]
	v_add_f64 v[71:72], v[77:78], v[71:72]
	v_fma_f64 v[77:78], v[12:13], s[20:21], v[6:7]
	v_add_f64 v[2:3], v[4:5], v[2:3]
	v_fma_f64 v[4:5], v[12:13], s[34:35], v[6:7]
	v_add_f64 v[6:7], v[238:239], v[242:243]
	v_add_f64 v[12:13], v[236:237], -v[240:241]
	v_add_f64 v[75:76], v[77:78], v[75:76]
	v_mul_f64 v[77:78], v[14:15], s[22:23]
	v_add_f64 v[0:1], v[4:5], v[0:1]
	v_add_f64 v[4:5], v[236:237], v[240:241]
	v_fma_f64 v[79:80], v[4:5], s[28:29], v[77:78]
	v_fma_f64 v[77:78], v[4:5], s[28:29], -v[77:78]
	v_add_f64 v[10:11], v[79:80], v[10:11]
	v_mul_f64 v[79:80], v[6:7], s[28:29]
	v_add_f64 v[8:9], v[77:78], v[8:9]
	v_fma_f64 v[77:78], v[12:13], s[22:23], v[79:80]
	v_fma_f64 v[168:169], v[12:13], s[36:37], v[79:80]
	v_add_f64 v[16:17], v[77:78], v[16:17]
	v_mul_f64 v[77:78], v[14:15], s[50:51]
	v_add_f64 v[25:26], v[168:169], v[25:26]
	v_fma_f64 v[79:80], v[4:5], s[48:49], v[77:78]
	v_fma_f64 v[77:78], v[4:5], s[48:49], -v[77:78]
	v_add_f64 v[21:22], v[79:80], v[21:22]
	v_mul_f64 v[79:80], v[6:7], s[48:49]
	v_add_f64 v[18:19], v[77:78], v[18:19]
	v_fma_f64 v[77:78], v[12:13], s[50:51], v[79:80]
	v_fma_f64 v[168:169], v[12:13], s[46:47], v[79:80]
	v_add_f64 v[23:24], v[77:78], v[23:24]
	v_mul_f64 v[77:78], v[14:15], s[34:35]
	;; [unrolled: 10-line block ×6, first 2 shown]
	v_mul_f64 v[14:15], v[14:15], s[40:41]
	v_add_f64 v[73:74], v[168:169], v[73:74]
	v_fma_f64 v[79:80], v[4:5], s[30:31], v[77:78]
	v_fma_f64 v[77:78], v[4:5], s[30:31], -v[77:78]
	v_add_f64 v[67:68], v[79:80], v[67:68]
	v_mul_f64 v[79:80], v[6:7], s[30:31]
	v_add_f64 v[65:66], v[77:78], v[65:66]
	v_mul_f64 v[6:7], v[6:7], s[42:43]
	v_fma_f64 v[77:78], v[12:13], s[26:27], v[79:80]
	v_fma_f64 v[168:169], v[12:13], s[38:39], v[79:80]
	v_add_f64 v[69:70], v[77:78], v[69:70]
	v_fma_f64 v[77:78], v[4:5], s[42:43], v[14:15]
	v_fma_f64 v[4:5], v[4:5], s[42:43], -v[14:15]
	v_add_f64 v[14:15], v[230:231], -v[234:235]
	v_add_f64 v[81:82], v[168:169], v[81:82]
	v_add_f64 v[71:72], v[77:78], v[71:72]
	v_fma_f64 v[77:78], v[12:13], s[44:45], v[6:7]
	v_add_f64 v[2:3], v[4:5], v[2:3]
	v_fma_f64 v[4:5], v[12:13], s[40:41], v[6:7]
	v_add_f64 v[6:7], v[230:231], v[234:235]
	v_add_f64 v[12:13], v[228:229], -v[232:233]
	v_add_f64 v[75:76], v[77:78], v[75:76]
	v_mul_f64 v[77:78], v[14:15], s[40:41]
	v_add_f64 v[0:1], v[4:5], v[0:1]
	v_add_f64 v[4:5], v[228:229], v[232:233]
	v_fma_f64 v[79:80], v[4:5], s[42:43], v[77:78]
	v_fma_f64 v[77:78], v[4:5], s[42:43], -v[77:78]
	v_add_f64 v[10:11], v[79:80], v[10:11]
	v_mul_f64 v[79:80], v[6:7], s[42:43]
	v_add_f64 v[8:9], v[77:78], v[8:9]
	v_fma_f64 v[77:78], v[12:13], s[40:41], v[79:80]
	v_fma_f64 v[168:169], v[12:13], s[44:45], v[79:80]
	v_add_f64 v[16:17], v[77:78], v[16:17]
	v_mul_f64 v[77:78], v[14:15], s[36:37]
	v_add_f64 v[25:26], v[168:169], v[25:26]
	v_fma_f64 v[79:80], v[4:5], s[28:29], v[77:78]
	v_fma_f64 v[77:78], v[4:5], s[28:29], -v[77:78]
	v_add_f64 v[21:22], v[79:80], v[21:22]
	v_mul_f64 v[79:80], v[6:7], s[28:29]
	v_add_f64 v[18:19], v[77:78], v[18:19]
	v_fma_f64 v[77:78], v[12:13], s[36:37], v[79:80]
	v_fma_f64 v[168:169], v[12:13], s[22:23], v[79:80]
	v_add_f64 v[23:24], v[77:78], v[23:24]
	v_mul_f64 v[77:78], v[14:15], s[26:27]
	;; [unrolled: 10-line block ×6, first 2 shown]
	v_mul_f64 v[14:15], v[14:15], s[18:19]
	v_add_f64 v[73:74], v[168:169], v[73:74]
	v_fma_f64 v[79:80], v[4:5], s[54:55], v[77:78]
	v_fma_f64 v[77:78], v[4:5], s[54:55], -v[77:78]
	v_add_f64 v[67:68], v[79:80], v[67:68]
	v_mul_f64 v[79:80], v[6:7], s[54:55]
	v_add_f64 v[65:66], v[77:78], v[65:66]
	v_mul_f64 v[6:7], v[6:7], s[14:15]
	v_fma_f64 v[77:78], v[12:13], s[52:53], v[79:80]
	v_fma_f64 v[168:169], v[12:13], s[56:57], v[79:80]
	v_add_f64 v[69:70], v[77:78], v[69:70]
	v_fma_f64 v[77:78], v[4:5], s[14:15], v[14:15]
	v_fma_f64 v[4:5], v[4:5], s[14:15], -v[14:15]
	v_add_f64 v[14:15], v[222:223], -v[226:227]
	v_add_f64 v[81:82], v[168:169], v[81:82]
	v_add_f64 v[71:72], v[77:78], v[71:72]
	v_fma_f64 v[77:78], v[12:13], s[16:17], v[6:7]
	v_add_f64 v[2:3], v[4:5], v[2:3]
	v_fma_f64 v[4:5], v[12:13], s[18:19], v[6:7]
	v_add_f64 v[6:7], v[222:223], v[226:227]
	v_add_f64 v[12:13], v[220:221], -v[224:225]
	v_add_f64 v[75:76], v[77:78], v[75:76]
	v_mul_f64 v[77:78], v[14:15], s[46:47]
	v_add_f64 v[0:1], v[4:5], v[0:1]
	v_add_f64 v[4:5], v[220:221], v[224:225]
	v_fma_f64 v[79:80], v[4:5], s[48:49], v[77:78]
	v_fma_f64 v[77:78], v[4:5], s[48:49], -v[77:78]
	v_add_f64 v[10:11], v[79:80], v[10:11]
	v_mul_f64 v[79:80], v[6:7], s[48:49]
	v_add_f64 v[8:9], v[77:78], v[8:9]
	v_fma_f64 v[77:78], v[12:13], s[46:47], v[79:80]
	v_fma_f64 v[168:169], v[12:13], s[50:51], v[79:80]
	v_add_f64 v[16:17], v[77:78], v[16:17]
	v_mul_f64 v[77:78], v[14:15], s[18:19]
	v_add_f64 v[25:26], v[168:169], v[25:26]
	v_fma_f64 v[79:80], v[4:5], s[14:15], v[77:78]
	v_fma_f64 v[77:78], v[4:5], s[14:15], -v[77:78]
	v_add_f64 v[21:22], v[79:80], v[21:22]
	v_mul_f64 v[79:80], v[6:7], s[14:15]
	v_add_f64 v[18:19], v[77:78], v[18:19]
	v_fma_f64 v[77:78], v[12:13], s[18:19], v[79:80]
	v_fma_f64 v[168:169], v[12:13], s[16:17], v[79:80]
	v_add_f64 v[23:24], v[77:78], v[23:24]
	v_mul_f64 v[77:78], v[14:15], s[2:3]
	;; [unrolled: 10-line block ×6, first 2 shown]
	v_mul_f64 v[14:15], v[14:15], s[22:23]
	v_add_f64 v[73:74], v[168:169], v[73:74]
	v_fma_f64 v[79:80], v[4:5], s[24:25], v[77:78]
	v_fma_f64 v[77:78], v[4:5], s[24:25], -v[77:78]
	v_add_f64 v[67:68], v[79:80], v[67:68]
	v_mul_f64 v[79:80], v[6:7], s[24:25]
	v_add_f64 v[65:66], v[77:78], v[65:66]
	v_mul_f64 v[6:7], v[6:7], s[28:29]
	v_fma_f64 v[77:78], v[12:13], s[34:35], v[79:80]
	v_fma_f64 v[168:169], v[12:13], s[20:21], v[79:80]
	v_add_f64 v[69:70], v[77:78], v[69:70]
	v_fma_f64 v[77:78], v[4:5], s[28:29], v[14:15]
	v_fma_f64 v[4:5], v[4:5], s[28:29], -v[14:15]
	v_add_f64 v[81:82], v[168:169], v[81:82]
	v_add_f64 v[168:169], v[212:213], v[216:217]
	v_mul_f64 v[14:15], v[170:171], s[30:31]
	v_add_f64 v[71:72], v[77:78], v[71:72]
	v_fma_f64 v[77:78], v[12:13], s[36:37], v[6:7]
	v_add_f64 v[75:76], v[77:78], v[75:76]
	v_add_f64 v[77:78], v[4:5], v[2:3]
	v_fma_f64 v[2:3], v[12:13], s[22:23], v[6:7]
	v_mul_f64 v[12:13], v[210:211], s[38:39]
	v_add_f64 v[79:80], v[2:3], v[0:1]
	v_mul_f64 v[0:1], v[210:211], s[52:53]
	v_fma_f64 v[2:3], v[168:169], s[54:55], v[0:1]
	v_fma_f64 v[0:1], v[168:169], s[54:55], -v[0:1]
	v_add_f64 v[4:5], v[2:3], v[10:11]
	v_mul_f64 v[2:3], v[170:171], s[54:55]
	v_add_f64 v[0:1], v[0:1], v[8:9]
	v_fma_f64 v[8:9], v[168:169], s[30:31], v[12:13]
	v_fma_f64 v[10:11], v[208:209], s[26:27], v[14:15]
	;; [unrolled: 1-line block ×3, first 2 shown]
	v_fma_f64 v[12:13], v[168:169], s[30:31], -v[12:13]
	v_fma_f64 v[6:7], v[208:209], s[56:57], v[2:3]
	v_fma_f64 v[2:3], v[208:209], s[52:53], v[2:3]
	v_add_f64 v[8:9], v[8:9], v[21:22]
	v_mul_f64 v[21:22], v[210:211], s[46:47]
	v_add_f64 v[14:15], v[14:15], v[23:24]
	v_mul_f64 v[23:24], v[170:171], s[48:49]
	v_add_f64 v[10:11], v[10:11], v[31:32]
	v_add_f64 v[12:13], v[12:13], v[18:19]
	;; [unrolled: 1-line block ×4, first 2 shown]
	v_mul_f64 v[31:32], v[170:171], s[24:25]
	v_fma_f64 v[16:17], v[168:169], s[48:49], v[21:22]
	v_fma_f64 v[21:22], v[168:169], s[48:49], -v[21:22]
	v_fma_f64 v[18:19], v[208:209], s[50:51], v[23:24]
	v_fma_f64 v[23:24], v[208:209], s[46:47], v[23:24]
	v_add_f64 v[16:17], v[16:17], v[29:30]
	v_mul_f64 v[29:30], v[210:211], s[34:35]
	v_add_f64 v[18:19], v[18:19], v[41:42]
	v_add_f64 v[21:22], v[21:22], v[27:28]
	v_add_f64 v[23:24], v[23:24], v[33:34]
	v_fma_f64 v[27:28], v[208:209], s[20:21], v[31:32]
	v_fma_f64 v[31:32], v[208:209], s[34:35], v[31:32]
	v_mul_f64 v[41:42], v[170:171], s[42:43]
	v_fma_f64 v[25:26], v[168:169], s[24:25], v[29:30]
	v_fma_f64 v[29:30], v[168:169], s[24:25], -v[29:30]
	v_add_f64 v[27:28], v[27:28], v[53:54]
	v_add_f64 v[31:32], v[31:32], v[47:48]
	;; [unrolled: 1-line block ×3, first 2 shown]
	v_mul_f64 v[37:38], v[210:211], s[40:41]
	v_add_f64 v[29:30], v[29:30], v[35:36]
	v_fma_f64 v[35:36], v[208:209], s[44:45], v[41:42]
	v_fma_f64 v[33:34], v[168:169], s[42:43], v[37:38]
	v_fma_f64 v[37:38], v[168:169], s[42:43], -v[37:38]
	v_add_f64 v[35:36], v[35:36], v[61:62]
	v_add_f64 v[33:34], v[33:34], v[51:52]
	;; [unrolled: 1-line block ×3, first 2 shown]
	v_fma_f64 v[37:38], v[208:209], s[40:41], v[41:42]
	v_add_f64 v[49:50], v[37:38], v[55:56]
	v_mul_f64 v[37:38], v[210:211], s[18:19]
	v_fma_f64 v[41:42], v[168:169], s[14:15], v[37:38]
	v_fma_f64 v[37:38], v[168:169], s[14:15], -v[37:38]
	v_add_f64 v[212:213], v[41:42], v[59:60]
	v_mul_f64 v[41:42], v[170:171], s[14:15]
	v_add_f64 v[216:217], v[37:38], v[57:58]
	v_fma_f64 v[37:38], v[208:209], s[18:19], v[41:42]
	v_fma_f64 v[51:52], v[208:209], s[16:17], v[41:42]
	v_add_f64 v[218:219], v[37:38], v[63:64]
	v_mul_f64 v[37:38], v[210:211], s[22:23]
	v_add_f64 v[214:215], v[51:52], v[73:74]
	v_fma_f64 v[41:42], v[168:169], s[28:29], v[37:38]
	v_fma_f64 v[37:38], v[168:169], s[28:29], -v[37:38]
	v_add_f64 v[220:221], v[41:42], v[67:68]
	v_mul_f64 v[41:42], v[170:171], s[28:29]
	v_add_f64 v[224:225], v[37:38], v[65:66]
	v_fma_f64 v[37:38], v[208:209], s[22:23], v[41:42]
	v_fma_f64 v[51:52], v[208:209], s[36:37], v[41:42]
	v_add_f64 v[226:227], v[37:38], v[69:70]
	v_mul_f64 v[37:38], v[210:211], s[12:13]
	v_add_f64 v[222:223], v[51:52], v[81:82]
	v_fma_f64 v[41:42], v[168:169], s[6:7], v[37:38]
	v_fma_f64 v[37:38], v[168:169], s[6:7], -v[37:38]
	v_add_f64 v[228:229], v[41:42], v[71:72]
	v_mul_f64 v[41:42], v[170:171], s[6:7]
	v_add_f64 v[232:233], v[37:38], v[77:78]
	v_fma_f64 v[51:52], v[208:209], s[2:3], v[41:42]
	v_fma_f64 v[37:38], v[208:209], s[12:13], v[41:42]
	v_add_f64 v[230:231], v[51:52], v[75:76]
	buffer_load_dword v51, off, s[60:63], 0 offset:372 ; 4-byte Folded Reload
	buffer_load_dword v52, off, s[60:63], 0 offset:376 ; 4-byte Folded Reload
	;; [unrolled: 1-line block ×4, first 2 shown]
	v_add_f64 v[234:235], v[37:38], v[79:80]
	s_waitcnt vmcnt(0)
	ds_write_b128 v46, v[51:54]
	ds_write_b128 v46, v[4:7] offset:16
	ds_write_b128 v46, v[8:11] offset:32
	;; [unrolled: 1-line block ×16, first 2 shown]
	s_waitcnt lgkmcnt(0)
	s_barrier
	ds_read_b128 v[224:227], v44
	ds_read_b128 v[16:19], v44 offset:9248
	ds_read_b128 v[220:223], v44 offset:1088
	;; [unrolled: 1-line block ×15, first 2 shown]
	s_and_saveexec_b64 s[2:3], s[0:1]
	s_cbranch_execz .LBB0_11
; %bb.10:
	ds_read_b128 v[0:3], v44 offset:8704
	ds_read_b128 v[204:207], v44 offset:17952
.LBB0_11:
	s_or_b64 exec, exec, s[2:3]
	buffer_load_dword v23, off, s[60:63], 0 offset:288 ; 4-byte Folded Reload
	buffer_load_dword v24, off, s[60:63], 0 offset:292 ; 4-byte Folded Reload
	;; [unrolled: 1-line block ×8, first 2 shown]
	s_waitcnt vmcnt(4) lgkmcnt(14)
	v_mul_f64 v[21:22], v[25:26], v[18:19]
	v_fma_f64 v[21:22], v[23:24], v[16:17], v[21:22]
	v_mul_f64 v[16:17], v[25:26], v[16:17]
	v_fma_f64 v[18:19], v[23:24], v[18:19], -v[16:17]
	s_waitcnt vmcnt(0) lgkmcnt(12)
	v_mul_f64 v[16:17], v[29:30], v[254:255]
	v_add_f64 v[18:19], v[226:227], -v[18:19]
	v_fma_f64 v[25:26], v[27:28], v[252:253], v[16:17]
	v_mul_f64 v[16:17], v[29:30], v[252:253]
	buffer_load_dword v29, off, s[60:63], 0 offset:304 ; 4-byte Folded Reload
	buffer_load_dword v30, off, s[60:63], 0 offset:308 ; 4-byte Folded Reload
	;; [unrolled: 1-line block ×4, first 2 shown]
	v_fma_f64 v[23:24], v[226:227], 2.0, -v[18:19]
	v_add_f64 v[25:26], v[220:221], -v[25:26]
	v_fma_f64 v[27:28], v[27:28], v[254:255], -v[16:17]
	s_waitcnt lgkmcnt(10)
	v_mul_f64 v[16:17], v[86:87], v[250:251]
	v_add_f64 v[27:28], v[222:223], -v[27:28]
	v_fma_f64 v[33:34], v[84:85], v[248:249], v[16:17]
	v_mul_f64 v[16:17], v[86:87], v[248:249]
	v_add_f64 v[33:34], v[216:217], -v[33:34]
	v_fma_f64 v[35:36], v[84:85], v[250:251], -v[16:17]
	v_fma_f64 v[46:47], v[216:217], 2.0, -v[33:34]
	v_add_f64 v[35:36], v[218:219], -v[35:36]
	v_fma_f64 v[48:49], v[218:219], 2.0, -v[35:36]
	s_waitcnt vmcnt(0) lgkmcnt(8)
	v_mul_f64 v[16:17], v[31:32], v[246:247]
	v_fma_f64 v[37:38], v[29:30], v[244:245], v[16:17]
	v_mul_f64 v[16:17], v[31:32], v[244:245]
	v_add_f64 v[72:73], v[212:213], -v[37:38]
	v_fma_f64 v[41:42], v[29:30], v[246:247], -v[16:17]
	buffer_load_dword v29, off, s[60:63], 0 offset:320 ; 4-byte Folded Reload
	buffer_load_dword v30, off, s[60:63], 0 offset:324 ; 4-byte Folded Reload
	;; [unrolled: 1-line block ×4, first 2 shown]
	s_waitcnt lgkmcnt(6)
	v_mul_f64 v[16:17], v[90:91], v[242:243]
	s_waitcnt vmcnt(0) lgkmcnt(0)
	s_barrier
	buffer_load_dword v37, off, s[60:63], 0 offset:336 ; 4-byte Folded Reload
	v_fma_f64 v[76:77], v[212:213], 2.0, -v[72:73]
	v_add_f64 v[74:75], v[214:215], -v[41:42]
	v_fma_f64 v[50:51], v[88:89], v[240:241], v[16:17]
	v_mul_f64 v[16:17], v[90:91], v[240:241]
	v_fma_f64 v[78:79], v[214:215], 2.0, -v[74:75]
	v_add_f64 v[80:81], v[208:209], -v[50:51]
	v_fma_f64 v[52:53], v[88:89], v[242:243], -v[16:17]
	v_fma_f64 v[84:85], v[208:209], 2.0, -v[80:81]
	v_add_f64 v[82:83], v[210:211], -v[52:53]
	v_fma_f64 v[86:87], v[210:211], 2.0, -v[82:83]
	v_mul_f64 v[16:17], v[31:32], v[238:239]
	v_fma_f64 v[54:55], v[29:30], v[236:237], v[16:17]
	v_mul_f64 v[16:17], v[31:32], v[236:237]
	v_fma_f64 v[31:32], v[222:223], 2.0, -v[27:28]
	v_add_f64 v[88:89], v[12:13], -v[54:55]
	v_fma_f64 v[56:57], v[29:30], v[238:239], -v[16:17]
	v_mul_f64 v[16:17], v[106:107], v[234:235]
	v_fma_f64 v[29:30], v[220:221], 2.0, -v[25:26]
	v_fma_f64 v[12:13], v[12:13], 2.0, -v[88:89]
	v_add_f64 v[90:91], v[14:15], -v[56:57]
	v_fma_f64 v[58:59], v[104:105], v[232:233], v[16:17]
	v_mul_f64 v[16:17], v[106:107], v[232:233]
	v_fma_f64 v[14:15], v[14:15], 2.0, -v[90:91]
	v_fma_f64 v[60:61], v[104:105], v[234:235], -v[16:17]
	v_mul_f64 v[16:17], v[98:99], v[230:231]
	v_fma_f64 v[62:63], v[96:97], v[228:229], v[16:17]
	v_mul_f64 v[16:17], v[98:99], v[228:229]
	v_fma_f64 v[64:65], v[96:97], v[230:231], -v[16:17]
	v_mul_f64 v[16:17], v[94:95], v[206:207]
	v_add_f64 v[96:97], v[4:5], -v[62:63]
	v_add_f64 v[98:99], v[6:7], -v[64:65]
	v_fma_f64 v[66:67], v[92:93], v[204:205], v[16:17]
	v_mul_f64 v[16:17], v[94:95], v[204:205]
	v_add_f64 v[94:95], v[10:11], -v[60:61]
	v_fma_f64 v[4:5], v[4:5], 2.0, -v[96:97]
	v_fma_f64 v[6:7], v[6:7], 2.0, -v[98:99]
	v_add_f64 v[68:69], v[0:1], -v[66:67]
	v_fma_f64 v[70:71], v[92:93], v[206:207], -v[16:17]
	v_add_f64 v[16:17], v[224:225], -v[21:22]
	v_add_f64 v[92:93], v[8:9], -v[58:59]
	v_fma_f64 v[10:11], v[10:11], 2.0, -v[94:95]
	v_add_f64 v[70:71], v[2:3], -v[70:71]
	v_fma_f64 v[21:22], v[224:225], 2.0, -v[16:17]
	s_waitcnt vmcnt(0)
	ds_write_b128 v37, v[21:24]
	ds_write_b128 v37, v[16:19] offset:272
	buffer_load_dword v16, off, s[60:63], 0 offset:340 ; 4-byte Folded Reload
	v_fma_f64 v[8:9], v[8:9], 2.0, -v[92:93]
	s_waitcnt vmcnt(0)
	ds_write_b128 v16, v[29:32]
	ds_write_b128 v16, v[25:28] offset:272
	buffer_load_dword v16, off, s[60:63], 0 offset:344 ; 4-byte Folded Reload
	s_waitcnt vmcnt(0)
	ds_write_b128 v16, v[46:49]
	ds_write_b128 v16, v[33:36] offset:272
	buffer_load_dword v16, off, s[60:63], 0 offset:348 ; 4-byte Folded Reload
	;; [unrolled: 4-line block ×6, first 2 shown]
	s_waitcnt vmcnt(0)
	ds_write_b128 v8, v[4:7]
	ds_write_b128 v8, v[96:99] offset:272
	s_and_saveexec_b64 s[2:3], s[0:1]
	s_cbranch_execz .LBB0_13
; %bb.12:
	buffer_load_dword v4, off, s[60:63], 0 offset:356 ; 4-byte Folded Reload
	v_fma_f64 v[2:3], v[2:3], 2.0, -v[70:71]
	v_fma_f64 v[0:1], v[0:1], 2.0, -v[68:69]
	s_waitcnt vmcnt(0)
	v_lshl_add_u32 v4, v4, 4, v45
	ds_write_b128 v4, v[0:3]
	ds_write_b128 v4, v[68:71] offset:272
.LBB0_13:
	s_or_b64 exec, exec, s[2:3]
	s_waitcnt lgkmcnt(0)
	s_barrier
	ds_read_b128 v[0:3], v44
	ds_read_b128 v[4:7], v44 offset:1088
	ds_read_b128 v[8:11], v44 offset:2176
	;; [unrolled: 1-line block ×16, first 2 shown]
	s_waitcnt lgkmcnt(14)
	v_mul_f64 v[37:38], v[130:131], v[6:7]
	s_mov_b32 s16, 0x5d8e7cdc
	s_mov_b32 s2, 0x2a9d6da3
	;; [unrolled: 1-line block ×7, first 2 shown]
	v_fma_f64 v[37:38], v[128:129], v[4:5], v[37:38]
	v_mul_f64 v[4:5], v[130:131], v[4:5]
	s_mov_b32 s23, 0xbfeca52d
	s_mov_b32 s7, 0xbfefdd0d
	;; [unrolled: 1-line block ×7, first 2 shown]
	v_fma_f64 v[49:50], v[128:129], v[6:7], -v[4:5]
	v_mul_f64 v[4:5], v[114:115], v[10:11]
	s_waitcnt lgkmcnt(7)
	v_mul_f64 v[6:7], v[162:163], v[47:48]
	s_mov_b32 s34, 0xc61f0d01
	s_mov_b32 s19, 0x3fedd6d0
	;; [unrolled: 1-line block ×6, first 2 shown]
	v_fma_f64 v[106:107], v[112:113], v[8:9], v[4:5]
	v_mul_f64 v[4:5], v[114:115], v[8:9]
	s_mov_b32 s25, 0x3fd71e95
	s_mov_b32 s24, s16
	;; [unrolled: 1-line block ×7, first 2 shown]
	v_fma_f64 v[112:113], v[112:113], v[10:11], -v[4:5]
	v_mul_f64 v[4:5], v[110:111], v[14:15]
	v_fma_f64 v[10:11], v[160:161], v[45:46], v[6:7]
	v_mul_f64 v[6:7], v[162:163], v[45:46]
	s_mov_b32 s14, s6
	s_mov_b32 s39, 0x3feec746
	;; [unrolled: 1-line block ×5, first 2 shown]
	v_fma_f64 v[104:105], v[108:109], v[12:13], v[4:5]
	v_mul_f64 v[4:5], v[110:111], v[12:13]
	v_fma_f64 v[6:7], v[160:161], v[47:48], -v[6:7]
	s_mov_b32 s56, s52
	s_waitcnt lgkmcnt(0)
	s_barrier
	v_add_u32_e32 v42, 0x1980, v44
	v_add_u32_e32 v41, 0x1dc0, v44
	v_fma_f64 v[98:99], v[108:109], v[14:15], -v[4:5]
	v_mul_f64 v[4:5], v[102:103], v[18:19]
	v_mul_f64 v[14:15], v[142:143], v[74:75]
	v_fma_f64 v[92:93], v[100:101], v[16:17], v[4:5]
	v_mul_f64 v[4:5], v[102:103], v[16:17]
	v_fma_f64 v[90:91], v[100:101], v[18:19], -v[4:5]
	v_mul_f64 v[4:5], v[146:147], v[23:24]
	v_fma_f64 v[18:19], v[140:141], v[72:73], v[14:15]
	v_mul_f64 v[14:15], v[142:143], v[72:73]
	v_fma_f64 v[86:87], v[144:145], v[21:22], v[4:5]
	v_mul_f64 v[4:5], v[146:147], v[21:22]
	v_fma_f64 v[14:15], v[140:141], v[74:75], -v[14:15]
	v_fma_f64 v[82:83], v[144:145], v[23:24], -v[4:5]
	v_mul_f64 v[23:24], v[138:139], v[96:97]
	v_mul_f64 v[4:5], v[126:127], v[27:28]
	v_fma_f64 v[80:81], v[136:137], v[94:95], v[23:24]
	v_mul_f64 v[23:24], v[138:139], v[94:95]
	v_fma_f64 v[78:79], v[124:125], v[25:26], v[4:5]
	v_mul_f64 v[4:5], v[126:127], v[25:26]
	v_fma_f64 v[76:77], v[136:137], v[96:97], -v[23:24]
	v_mul_f64 v[23:24], v[134:135], v[206:207]
	v_fma_f64 v[21:22], v[124:125], v[27:28], -v[4:5]
	v_mul_f64 v[4:5], v[122:123], v[31:32]
	v_add_f64 v[27:28], v[2:3], v[49:50]
	v_fma_f64 v[88:89], v[132:133], v[204:205], v[23:24]
	v_mul_f64 v[23:24], v[134:135], v[204:205]
	v_fma_f64 v[16:17], v[120:121], v[29:30], v[4:5]
	v_mul_f64 v[4:5], v[122:123], v[29:30]
	v_add_f64 v[27:28], v[27:28], v[112:113]
	v_fma_f64 v[84:85], v[132:133], v[206:207], -v[23:24]
	v_mul_f64 v[23:24], v[166:167], v[210:211]
	v_fma_f64 v[12:13], v[120:121], v[31:32], -v[4:5]
	v_add_f64 v[27:28], v[27:28], v[98:99]
	v_mul_f64 v[4:5], v[118:119], v[35:36]
	v_fma_f64 v[96:97], v[164:165], v[208:209], v[23:24]
	v_mul_f64 v[23:24], v[166:167], v[208:209]
	v_add_f64 v[27:28], v[27:28], v[90:91]
	v_fma_f64 v[8:9], v[116:117], v[33:34], v[4:5]
	v_mul_f64 v[4:5], v[118:119], v[33:34]
	v_fma_f64 v[94:95], v[164:165], v[210:211], -v[23:24]
	v_mul_f64 v[23:24], v[158:159], v[214:215]
	v_add_f64 v[27:28], v[27:28], v[82:83]
	v_fma_f64 v[4:5], v[116:117], v[35:36], -v[4:5]
	v_fma_f64 v[102:103], v[156:157], v[212:213], v[23:24]
	v_mul_f64 v[23:24], v[158:159], v[212:213]
	v_add_f64 v[27:28], v[27:28], v[21:22]
	v_fma_f64 v[100:101], v[156:157], v[214:215], -v[23:24]
	v_mul_f64 v[23:24], v[154:155], v[218:219]
	v_add_f64 v[27:28], v[27:28], v[12:13]
	v_fma_f64 v[110:111], v[152:153], v[216:217], v[23:24]
	v_mul_f64 v[23:24], v[154:155], v[216:217]
	v_add_f64 v[27:28], v[27:28], v[4:5]
	v_fma_f64 v[108:109], v[152:153], v[218:219], -v[23:24]
	v_mul_f64 v[23:24], v[150:151], v[222:223]
	v_add_f64 v[27:28], v[27:28], v[6:7]
	v_fma_f64 v[25:26], v[148:149], v[220:221], v[23:24]
	v_mul_f64 v[23:24], v[150:151], v[220:221]
	v_add_f64 v[27:28], v[27:28], v[14:15]
	v_fma_f64 v[29:30], v[148:149], v[222:223], -v[23:24]
	v_add_f64 v[23:24], v[0:1], v[37:38]
	v_add_f64 v[27:28], v[27:28], v[76:77]
	v_add_f64 v[35:36], v[49:50], -v[29:30]
	v_add_f64 v[23:24], v[23:24], v[106:107]
	v_add_f64 v[27:28], v[27:28], v[84:85]
	v_mul_f64 v[31:32], v[35:36], s[16:17]
	v_add_f64 v[23:24], v[23:24], v[104:105]
	v_add_f64 v[27:28], v[27:28], v[94:95]
	v_mul_f64 v[45:46], v[35:36], s[2:3]
	v_mul_f64 v[53:54], v[35:36], s[22:23]
	;; [unrolled: 1-line block ×6, first 2 shown]
	v_add_f64 v[23:24], v[23:24], v[92:93]
	v_add_f64 v[27:28], v[27:28], v[100:101]
	v_mul_f64 v[35:36], v[35:36], s[52:53]
	v_add_f64 v[23:24], v[23:24], v[86:87]
	v_add_f64 v[27:28], v[27:28], v[108:109]
	;; [unrolled: 1-line block ×6, first 2 shown]
	v_mul_f64 v[33:34], v[27:28], s[18:19]
	v_mul_f64 v[49:50], v[27:28], s[28:29]
	;; [unrolled: 1-line block ×6, first 2 shown]
	v_add_f64 v[23:24], v[23:24], v[8:9]
	v_mul_f64 v[136:137], v[27:28], s[48:49]
	v_mul_f64 v[27:28], v[27:28], s[54:55]
	v_add_f64 v[23:24], v[23:24], v[10:11]
	v_add_f64 v[23:24], v[23:24], v[18:19]
	;; [unrolled: 1-line block ×9, first 2 shown]
	v_add_f64 v[25:26], v[37:38], -v[25:26]
	v_fma_f64 v[29:30], v[23:24], s[18:19], v[31:32]
	v_fma_f64 v[31:32], v[23:24], s[18:19], -v[31:32]
	v_fma_f64 v[47:48], v[23:24], s[28:29], v[45:46]
	v_fma_f64 v[45:46], v[23:24], s[28:29], -v[45:46]
	;; [unrolled: 2-line block ×8, first 2 shown]
	v_add_f64 v[37:38], v[0:1], v[29:30]
	v_fma_f64 v[29:30], v[25:26], s[24:25], v[33:34]
	v_add_f64 v[31:32], v[0:1], v[31:32]
	v_fma_f64 v[33:34], v[25:26], s[16:17], v[33:34]
	;; [unrolled: 2-line block ×16, first 2 shown]
	v_add_f64 v[35:36], v[112:113], -v[108:109]
	v_add_f64 v[29:30], v[2:3], v[29:30]
	v_add_f64 v[33:34], v[2:3], v[33:34]
	;; [unrolled: 1-line block ×17, first 2 shown]
	v_add_f64 v[27:28], v[106:107], -v[110:111]
	v_mul_f64 v[106:107], v[35:36], s[2:3]
	v_add_f64 v[25:26], v[112:113], v[108:109]
	v_fma_f64 v[108:109], v[23:24], s[28:29], v[106:107]
	v_fma_f64 v[106:107], v[23:24], s[28:29], -v[106:107]
	v_mul_f64 v[112:113], v[25:26], s[48:49]
	v_add_f64 v[37:38], v[108:109], v[37:38]
	v_mul_f64 v[108:109], v[25:26], s[28:29]
	v_add_f64 v[31:32], v[106:107], v[31:32]
	v_fma_f64 v[106:107], v[27:28], s[2:3], v[108:109]
	v_fma_f64 v[110:111], v[27:28], s[36:37], v[108:109]
	v_add_f64 v[33:34], v[106:107], v[33:34]
	v_mul_f64 v[106:107], v[35:36], s[6:7]
	v_add_f64 v[29:30], v[110:111], v[29:30]
	v_fma_f64 v[108:109], v[23:24], s[12:13], v[106:107]
	v_fma_f64 v[106:107], v[23:24], s[12:13], -v[106:107]
	v_add_f64 v[47:48], v[108:109], v[47:48]
	v_mul_f64 v[108:109], v[25:26], s[12:13]
	v_add_f64 v[45:46], v[106:107], v[45:46]
	v_fma_f64 v[106:107], v[27:28], s[6:7], v[108:109]
	v_fma_f64 v[110:111], v[27:28], s[14:15], v[108:109]
	v_add_f64 v[49:50], v[106:107], v[49:50]
	v_mul_f64 v[106:107], v[35:36], s[40:41]
	v_add_f64 v[51:52], v[110:111], v[51:52]
	v_fma_f64 v[108:109], v[23:24], s[42:43], v[106:107]
	v_fma_f64 v[106:107], v[23:24], s[42:43], -v[106:107]
	v_add_f64 v[55:56], v[108:109], v[55:56]
	v_mul_f64 v[108:109], v[25:26], s[42:43]
	v_add_f64 v[53:54], v[106:107], v[53:54]
	v_fma_f64 v[106:107], v[27:28], s[40:41], v[108:109]
	v_fma_f64 v[110:111], v[27:28], s[44:45], v[108:109]
	v_add_f64 v[57:58], v[106:107], v[57:58]
	v_mul_f64 v[106:107], v[35:36], s[52:53]
	v_add_f64 v[59:60], v[110:111], v[59:60]
	v_fma_f64 v[108:109], v[23:24], s[54:55], v[106:107]
	v_fma_f64 v[106:107], v[23:24], s[54:55], -v[106:107]
	v_add_f64 v[63:64], v[108:109], v[63:64]
	v_mul_f64 v[108:109], v[25:26], s[54:55]
	v_add_f64 v[61:62], v[106:107], v[61:62]
	v_fma_f64 v[106:107], v[27:28], s[52:53], v[108:109]
	v_fma_f64 v[110:111], v[27:28], s[56:57], v[108:109]
	v_add_f64 v[65:66], v[106:107], v[65:66]
	v_mul_f64 v[106:107], v[35:36], s[50:51]
	v_add_f64 v[110:111], v[110:111], v[114:115]
	v_fma_f64 v[114:115], v[27:28], s[46:47], v[112:113]
	v_fma_f64 v[112:113], v[27:28], s[50:51], v[112:113]
	;; [unrolled: 1-line block ×3, first 2 shown]
	v_fma_f64 v[106:107], v[23:24], s[48:49], -v[106:107]
	v_add_f64 v[114:115], v[114:115], v[122:123]
	v_add_f64 v[112:113], v[112:113], v[120:121]
	v_mul_f64 v[120:121], v[25:26], s[34:35]
	v_add_f64 v[108:109], v[108:109], v[118:119]
	v_add_f64 v[106:107], v[106:107], v[116:117]
	v_mul_f64 v[116:117], v[35:36], s[38:39]
	v_fma_f64 v[122:123], v[27:28], s[30:31], v[120:121]
	v_fma_f64 v[120:121], v[27:28], s[38:39], v[120:121]
	;; [unrolled: 1-line block ×3, first 2 shown]
	v_fma_f64 v[116:117], v[23:24], s[34:35], -v[116:117]
	v_add_f64 v[122:123], v[122:123], v[130:131]
	v_add_f64 v[120:121], v[120:121], v[128:129]
	v_mul_f64 v[128:129], v[25:26], s[20:21]
	v_mul_f64 v[25:26], v[25:26], s[18:19]
	v_add_f64 v[118:119], v[118:119], v[126:127]
	v_add_f64 v[116:117], v[116:117], v[124:125]
	v_mul_f64 v[124:125], v[35:36], s[26:27]
	v_mul_f64 v[35:36], v[35:36], s[24:25]
	v_fma_f64 v[130:131], v[27:28], s[22:23], v[128:129]
	v_fma_f64 v[128:129], v[27:28], s[26:27], v[128:129]
	;; [unrolled: 1-line block ×3, first 2 shown]
	v_fma_f64 v[124:125], v[23:24], s[20:21], -v[124:125]
	v_add_f64 v[130:131], v[130:131], v[138:139]
	v_add_f64 v[128:129], v[128:129], v[136:137]
	;; [unrolled: 1-line block ×4, first 2 shown]
	v_fma_f64 v[132:133], v[23:24], s[18:19], v[35:36]
	v_fma_f64 v[23:24], v[23:24], s[18:19], -v[35:36]
	v_add_f64 v[35:36], v[98:99], -v[100:101]
	v_fma_f64 v[134:135], v[27:28], s[16:17], v[25:26]
	v_add_f64 v[132:133], v[132:133], v[140:141]
	v_add_f64 v[0:1], v[23:24], v[0:1]
	v_fma_f64 v[23:24], v[27:28], s[24:25], v[25:26]
	v_add_f64 v[25:26], v[98:99], v[100:101]
	v_mul_f64 v[98:99], v[35:36], s[22:23]
	v_add_f64 v[27:28], v[104:105], -v[102:103]
	v_add_f64 v[134:135], v[134:135], v[142:143]
	v_add_f64 v[2:3], v[23:24], v[2:3]
	;; [unrolled: 1-line block ×3, first 2 shown]
	v_mul_f64 v[104:105], v[25:26], s[28:29]
	v_fma_f64 v[100:101], v[23:24], s[20:21], v[98:99]
	v_fma_f64 v[98:99], v[23:24], s[20:21], -v[98:99]
	v_add_f64 v[37:38], v[100:101], v[37:38]
	v_mul_f64 v[100:101], v[25:26], s[20:21]
	v_add_f64 v[31:32], v[98:99], v[31:32]
	v_fma_f64 v[98:99], v[27:28], s[22:23], v[100:101]
	v_fma_f64 v[102:103], v[27:28], s[26:27], v[100:101]
	v_add_f64 v[33:34], v[98:99], v[33:34]
	v_mul_f64 v[98:99], v[35:36], s[40:41]
	v_add_f64 v[29:30], v[102:103], v[29:30]
	v_fma_f64 v[100:101], v[23:24], s[42:43], v[98:99]
	v_fma_f64 v[98:99], v[23:24], s[42:43], -v[98:99]
	v_add_f64 v[47:48], v[100:101], v[47:48]
	v_mul_f64 v[100:101], v[25:26], s[42:43]
	v_add_f64 v[45:46], v[98:99], v[45:46]
	v_fma_f64 v[98:99], v[27:28], s[40:41], v[100:101]
	v_fma_f64 v[102:103], v[27:28], s[44:45], v[100:101]
	v_add_f64 v[49:50], v[98:99], v[49:50]
	v_mul_f64 v[98:99], v[35:36], s[56:57]
	v_add_f64 v[51:52], v[102:103], v[51:52]
	;; [unrolled: 10-line block ×4, first 2 shown]
	v_fma_f64 v[100:101], v[23:24], s[28:29], v[98:99]
	v_fma_f64 v[98:99], v[23:24], s[28:29], -v[98:99]
	v_add_f64 v[100:101], v[100:101], v[108:109]
	v_add_f64 v[98:99], v[98:99], v[106:107]
	v_mul_f64 v[106:107], v[35:36], s[16:17]
	v_fma_f64 v[108:109], v[27:28], s[2:3], v[104:105]
	v_fma_f64 v[104:105], v[27:28], s[36:37], v[104:105]
	v_fma_f64 v[110:111], v[23:24], s[18:19], v[106:107]
	v_fma_f64 v[106:107], v[23:24], s[18:19], -v[106:107]
	v_add_f64 v[104:105], v[104:105], v[112:113]
	v_mul_f64 v[112:113], v[25:26], s[18:19]
	v_add_f64 v[108:109], v[108:109], v[114:115]
	v_add_f64 v[110:111], v[110:111], v[118:119]
	;; [unrolled: 1-line block ×3, first 2 shown]
	v_mul_f64 v[116:117], v[35:36], s[6:7]
	v_fma_f64 v[114:115], v[27:28], s[24:25], v[112:113]
	v_fma_f64 v[112:113], v[27:28], s[16:17], v[112:113]
	v_mul_f64 v[35:36], v[35:36], s[46:47]
	v_fma_f64 v[118:119], v[23:24], s[12:13], v[116:117]
	v_fma_f64 v[116:117], v[23:24], s[12:13], -v[116:117]
	v_add_f64 v[112:113], v[112:113], v[120:121]
	v_mul_f64 v[120:121], v[25:26], s[12:13]
	v_mul_f64 v[25:26], v[25:26], s[48:49]
	v_add_f64 v[114:115], v[114:115], v[122:123]
	v_add_f64 v[118:119], v[118:119], v[126:127]
	;; [unrolled: 1-line block ×3, first 2 shown]
	v_fma_f64 v[124:125], v[23:24], s[48:49], v[35:36]
	v_fma_f64 v[23:24], v[23:24], s[48:49], -v[35:36]
	v_add_f64 v[35:36], v[90:91], -v[94:95]
	v_fma_f64 v[126:127], v[27:28], s[50:51], v[25:26]
	v_fma_f64 v[122:123], v[27:28], s[14:15], v[120:121]
	;; [unrolled: 1-line block ×3, first 2 shown]
	v_add_f64 v[124:125], v[124:125], v[132:133]
	v_add_f64 v[0:1], v[23:24], v[0:1]
	v_fma_f64 v[23:24], v[27:28], s[46:47], v[25:26]
	v_add_f64 v[25:26], v[90:91], v[94:95]
	v_mul_f64 v[90:91], v[35:36], s[6:7]
	v_add_f64 v[27:28], v[92:93], -v[96:97]
	v_add_f64 v[120:121], v[120:121], v[128:129]
	v_add_f64 v[122:123], v[122:123], v[130:131]
	;; [unrolled: 1-line block ×5, first 2 shown]
	v_mul_f64 v[96:97], v[25:26], s[20:21]
	v_fma_f64 v[92:93], v[23:24], s[12:13], v[90:91]
	v_fma_f64 v[90:91], v[23:24], s[12:13], -v[90:91]
	v_add_f64 v[37:38], v[92:93], v[37:38]
	v_mul_f64 v[92:93], v[25:26], s[12:13]
	v_add_f64 v[31:32], v[90:91], v[31:32]
	v_fma_f64 v[90:91], v[27:28], s[6:7], v[92:93]
	v_fma_f64 v[94:95], v[27:28], s[14:15], v[92:93]
	v_add_f64 v[33:34], v[90:91], v[33:34]
	v_mul_f64 v[90:91], v[35:36], s[52:53]
	v_add_f64 v[29:30], v[94:95], v[29:30]
	v_fma_f64 v[92:93], v[23:24], s[54:55], v[90:91]
	v_fma_f64 v[90:91], v[23:24], s[54:55], -v[90:91]
	v_add_f64 v[47:48], v[92:93], v[47:48]
	v_mul_f64 v[92:93], v[25:26], s[54:55]
	v_add_f64 v[45:46], v[90:91], v[45:46]
	v_fma_f64 v[90:91], v[27:28], s[52:53], v[92:93]
	v_fma_f64 v[94:95], v[27:28], s[56:57], v[92:93]
	v_add_f64 v[49:50], v[90:91], v[49:50]
	v_mul_f64 v[90:91], v[35:36], s[38:39]
	v_add_f64 v[51:52], v[94:95], v[51:52]
	;; [unrolled: 10-line block ×4, first 2 shown]
	v_fma_f64 v[92:93], v[23:24], s[20:21], v[90:91]
	v_fma_f64 v[90:91], v[23:24], s[20:21], -v[90:91]
	v_add_f64 v[92:93], v[92:93], v[100:101]
	v_add_f64 v[90:91], v[90:91], v[98:99]
	v_mul_f64 v[98:99], v[35:36], s[46:47]
	v_fma_f64 v[100:101], v[27:28], s[26:27], v[96:97]
	v_fma_f64 v[96:97], v[27:28], s[22:23], v[96:97]
	;; [unrolled: 1-line block ×3, first 2 shown]
	v_fma_f64 v[98:99], v[23:24], s[48:49], -v[98:99]
	v_add_f64 v[96:97], v[96:97], v[104:105]
	v_mul_f64 v[104:105], v[25:26], s[48:49]
	v_add_f64 v[100:101], v[100:101], v[108:109]
	v_add_f64 v[102:103], v[102:103], v[110:111]
	v_add_f64 v[98:99], v[98:99], v[106:107]
	v_mul_f64 v[106:107], v[35:36], s[44:45]
	v_fma_f64 v[108:109], v[27:28], s[50:51], v[104:105]
	v_fma_f64 v[104:105], v[27:28], s[46:47], v[104:105]
	v_mul_f64 v[35:36], v[35:36], s[36:37]
	v_fma_f64 v[110:111], v[23:24], s[42:43], v[106:107]
	v_fma_f64 v[106:107], v[23:24], s[42:43], -v[106:107]
	v_add_f64 v[104:105], v[104:105], v[112:113]
	v_mul_f64 v[112:113], v[25:26], s[42:43]
	v_mul_f64 v[25:26], v[25:26], s[28:29]
	v_add_f64 v[108:109], v[108:109], v[114:115]
	v_add_f64 v[110:111], v[110:111], v[118:119]
	;; [unrolled: 1-line block ×3, first 2 shown]
	v_fma_f64 v[116:117], v[23:24], s[28:29], v[35:36]
	v_fma_f64 v[23:24], v[23:24], s[28:29], -v[35:36]
	v_add_f64 v[35:36], v[82:83], -v[84:85]
	v_fma_f64 v[118:119], v[27:28], s[2:3], v[25:26]
	v_fma_f64 v[114:115], v[27:28], s[40:41], v[112:113]
	;; [unrolled: 1-line block ×3, first 2 shown]
	v_add_f64 v[116:117], v[116:117], v[124:125]
	v_add_f64 v[0:1], v[23:24], v[0:1]
	v_fma_f64 v[23:24], v[27:28], s[36:37], v[25:26]
	v_add_f64 v[25:26], v[82:83], v[84:85]
	v_mul_f64 v[82:83], v[35:36], s[30:31]
	v_add_f64 v[27:28], v[86:87], -v[88:89]
	v_add_f64 v[112:113], v[112:113], v[120:121]
	v_add_f64 v[114:115], v[114:115], v[122:123]
	;; [unrolled: 1-line block ×5, first 2 shown]
	v_mul_f64 v[88:89], v[25:26], s[54:55]
	v_fma_f64 v[84:85], v[23:24], s[34:35], v[82:83]
	v_fma_f64 v[82:83], v[23:24], s[34:35], -v[82:83]
	v_add_f64 v[37:38], v[84:85], v[37:38]
	v_mul_f64 v[84:85], v[25:26], s[34:35]
	v_add_f64 v[31:32], v[82:83], v[31:32]
	v_fma_f64 v[82:83], v[27:28], s[30:31], v[84:85]
	v_fma_f64 v[86:87], v[27:28], s[38:39], v[84:85]
	v_add_f64 v[33:34], v[82:83], v[33:34]
	v_mul_f64 v[82:83], v[35:36], s[50:51]
	v_add_f64 v[29:30], v[86:87], v[29:30]
	v_fma_f64 v[84:85], v[23:24], s[48:49], v[82:83]
	v_fma_f64 v[82:83], v[23:24], s[48:49], -v[82:83]
	v_add_f64 v[47:48], v[84:85], v[47:48]
	v_mul_f64 v[84:85], v[25:26], s[48:49]
	v_add_f64 v[45:46], v[82:83], v[45:46]
	v_fma_f64 v[82:83], v[27:28], s[50:51], v[84:85]
	v_fma_f64 v[86:87], v[27:28], s[46:47], v[84:85]
	v_add_f64 v[49:50], v[82:83], v[49:50]
	v_mul_f64 v[82:83], v[35:36], s[36:37]
	v_add_f64 v[51:52], v[86:87], v[51:52]
	;; [unrolled: 10-line block ×4, first 2 shown]
	v_fma_f64 v[84:85], v[23:24], s[54:55], v[82:83]
	v_fma_f64 v[82:83], v[23:24], s[54:55], -v[82:83]
	v_add_f64 v[84:85], v[84:85], v[92:93]
	v_add_f64 v[82:83], v[82:83], v[90:91]
	v_mul_f64 v[90:91], v[35:36], s[14:15]
	v_fma_f64 v[92:93], v[27:28], s[56:57], v[88:89]
	v_fma_f64 v[88:89], v[27:28], s[52:53], v[88:89]
	;; [unrolled: 1-line block ×3, first 2 shown]
	v_fma_f64 v[90:91], v[23:24], s[12:13], -v[90:91]
	v_add_f64 v[88:89], v[88:89], v[96:97]
	v_mul_f64 v[96:97], v[25:26], s[12:13]
	v_add_f64 v[92:93], v[92:93], v[100:101]
	v_add_f64 v[94:95], v[94:95], v[102:103]
	;; [unrolled: 1-line block ×3, first 2 shown]
	v_mul_f64 v[98:99], v[35:36], s[16:17]
	v_fma_f64 v[100:101], v[27:28], s[6:7], v[96:97]
	v_fma_f64 v[96:97], v[27:28], s[14:15], v[96:97]
	v_mul_f64 v[35:36], v[35:36], s[40:41]
	v_fma_f64 v[102:103], v[23:24], s[18:19], v[98:99]
	v_fma_f64 v[98:99], v[23:24], s[18:19], -v[98:99]
	v_add_f64 v[96:97], v[96:97], v[104:105]
	v_mul_f64 v[104:105], v[25:26], s[18:19]
	v_mul_f64 v[25:26], v[25:26], s[42:43]
	v_add_f64 v[100:101], v[100:101], v[108:109]
	v_add_f64 v[102:103], v[102:103], v[110:111]
	;; [unrolled: 1-line block ×3, first 2 shown]
	v_fma_f64 v[106:107], v[23:24], s[42:43], v[35:36]
	v_fma_f64 v[23:24], v[23:24], s[42:43], -v[35:36]
	v_fma_f64 v[110:111], v[27:28], s[44:45], v[25:26]
	v_fma_f64 v[108:109], v[27:28], s[24:25], v[104:105]
	;; [unrolled: 1-line block ×3, first 2 shown]
	v_add_f64 v[106:107], v[106:107], v[116:117]
	v_add_f64 v[0:1], v[23:24], v[0:1]
	v_fma_f64 v[23:24], v[27:28], s[40:41], v[25:26]
	v_add_f64 v[25:26], v[21:22], v[76:77]
	v_add_f64 v[21:22], v[21:22], -v[76:77]
	v_add_f64 v[27:28], v[78:79], -v[80:81]
	v_add_f64 v[104:105], v[104:105], v[112:113]
	v_add_f64 v[108:109], v[108:109], v[114:115]
	;; [unrolled: 1-line block ×5, first 2 shown]
	v_mul_f64 v[35:36], v[21:22], s[40:41]
	v_mul_f64 v[80:81], v[25:26], s[12:13]
	v_fma_f64 v[76:77], v[23:24], s[42:43], v[35:36]
	v_fma_f64 v[35:36], v[23:24], s[42:43], -v[35:36]
	v_add_f64 v[37:38], v[76:77], v[37:38]
	v_mul_f64 v[76:77], v[25:26], s[42:43]
	v_add_f64 v[31:32], v[35:36], v[31:32]
	v_fma_f64 v[35:36], v[27:28], s[40:41], v[76:77]
	v_fma_f64 v[78:79], v[27:28], s[44:45], v[76:77]
	v_add_f64 v[33:34], v[35:36], v[33:34]
	v_mul_f64 v[35:36], v[21:22], s[38:39]
	v_add_f64 v[29:30], v[78:79], v[29:30]
	v_fma_f64 v[76:77], v[23:24], s[34:35], v[35:36]
	v_fma_f64 v[35:36], v[23:24], s[34:35], -v[35:36]
	v_add_f64 v[47:48], v[76:77], v[47:48]
	v_mul_f64 v[76:77], v[25:26], s[34:35]
	v_add_f64 v[35:36], v[35:36], v[45:46]
	v_fma_f64 v[45:46], v[27:28], s[38:39], v[76:77]
	v_fma_f64 v[78:79], v[27:28], s[30:31], v[76:77]
	v_add_f64 v[45:46], v[45:46], v[49:50]
	v_mul_f64 v[49:50], v[21:22], s[16:17]
	v_add_f64 v[51:52], v[78:79], v[51:52]
	;; [unrolled: 10-line block ×4, first 2 shown]
	v_fma_f64 v[76:77], v[23:24], s[12:13], v[65:66]
	v_fma_f64 v[65:66], v[23:24], s[12:13], -v[65:66]
	v_add_f64 v[76:77], v[76:77], v[84:85]
	v_add_f64 v[65:66], v[65:66], v[82:83]
	v_mul_f64 v[82:83], v[21:22], s[2:3]
	v_fma_f64 v[84:85], v[27:28], s[6:7], v[80:81]
	v_fma_f64 v[80:81], v[27:28], s[14:15], v[80:81]
	;; [unrolled: 1-line block ×3, first 2 shown]
	v_fma_f64 v[82:83], v[23:24], s[28:29], -v[82:83]
	v_add_f64 v[80:81], v[80:81], v[88:89]
	v_mul_f64 v[88:89], v[25:26], s[28:29]
	v_add_f64 v[84:85], v[84:85], v[92:93]
	v_add_f64 v[86:87], v[86:87], v[94:95]
	;; [unrolled: 1-line block ×3, first 2 shown]
	v_mul_f64 v[90:91], v[21:22], s[52:53]
	v_fma_f64 v[92:93], v[27:28], s[36:37], v[88:89]
	v_fma_f64 v[88:89], v[27:28], s[2:3], v[88:89]
	v_mul_f64 v[21:22], v[21:22], s[26:27]
	v_fma_f64 v[94:95], v[23:24], s[54:55], v[90:91]
	v_fma_f64 v[90:91], v[23:24], s[54:55], -v[90:91]
	v_add_f64 v[88:89], v[88:89], v[96:97]
	v_mul_f64 v[96:97], v[25:26], s[54:55]
	v_mul_f64 v[25:26], v[25:26], s[20:21]
	v_add_f64 v[92:93], v[92:93], v[100:101]
	v_add_f64 v[94:95], v[94:95], v[102:103]
	;; [unrolled: 1-line block ×3, first 2 shown]
	v_fma_f64 v[98:99], v[23:24], s[20:21], v[21:22]
	v_fma_f64 v[21:22], v[23:24], s[20:21], -v[21:22]
	v_add_f64 v[23:24], v[12:13], v[14:15]
	v_fma_f64 v[102:103], v[27:28], s[22:23], v[25:26]
	v_add_f64 v[12:13], v[12:13], -v[14:15]
	v_fma_f64 v[100:101], v[27:28], s[56:57], v[96:97]
	v_fma_f64 v[96:97], v[27:28], s[52:53], v[96:97]
	v_add_f64 v[98:99], v[98:99], v[106:107]
	v_add_f64 v[0:1], v[21:22], v[0:1]
	v_fma_f64 v[21:22], v[27:28], s[26:27], v[25:26]
	v_mul_f64 v[25:26], v[23:24], s[48:49]
	v_mul_f64 v[14:15], v[12:13], s[46:47]
	v_add_f64 v[100:101], v[100:101], v[108:109]
	v_add_f64 v[96:97], v[96:97], v[104:105]
	v_add_f64 v[102:103], v[102:103], v[110:111]
	v_add_f64 v[110:111], v[4:5], -v[6:7]
	v_add_f64 v[104:105], v[8:9], v[10:11]
	v_add_f64 v[2:3], v[21:22], v[2:3]
	v_add_f64 v[21:22], v[16:17], v[18:19]
	v_add_f64 v[16:17], v[16:17], -v[18:19]
	v_add_f64 v[106:107], v[4:5], v[6:7]
	v_add_f64 v[108:109], v[8:9], -v[10:11]
	v_fma_f64 v[18:19], v[21:22], s[48:49], v[14:15]
	v_fma_f64 v[27:28], v[16:17], s[50:51], v[25:26]
	v_fma_f64 v[14:15], v[21:22], s[48:49], -v[14:15]
	v_fma_f64 v[25:26], v[16:17], s[46:47], v[25:26]
	v_add_f64 v[18:19], v[18:19], v[37:38]
	v_add_f64 v[27:28], v[27:28], v[29:30]
	v_mul_f64 v[29:30], v[12:13], s[26:27]
	v_add_f64 v[14:15], v[14:15], v[31:32]
	v_add_f64 v[25:26], v[25:26], v[33:34]
	v_mul_f64 v[33:34], v[23:24], s[20:21]
	v_fma_f64 v[31:32], v[21:22], s[20:21], v[29:30]
	v_fma_f64 v[29:30], v[21:22], s[20:21], -v[29:30]
	v_fma_f64 v[37:38], v[16:17], s[22:23], v[33:34]
	v_fma_f64 v[33:34], v[16:17], s[26:27], v[33:34]
	v_add_f64 v[31:32], v[31:32], v[47:48]
	v_add_f64 v[29:30], v[29:30], v[35:36]
	v_mul_f64 v[35:36], v[12:13], s[6:7]
	v_mul_f64 v[47:48], v[23:24], s[12:13]
	v_add_f64 v[33:34], v[33:34], v[45:46]
	v_add_f64 v[37:38], v[37:38], v[51:52]
	v_fma_f64 v[45:46], v[21:22], s[12:13], v[35:36]
	v_fma_f64 v[35:36], v[21:22], s[12:13], -v[35:36]
	v_fma_f64 v[51:52], v[16:17], s[14:15], v[47:48]
	v_fma_f64 v[47:48], v[16:17], s[6:7], v[47:48]
	v_add_f64 v[45:46], v[45:46], v[55:56]
	v_add_f64 v[35:36], v[35:36], v[49:50]
	v_mul_f64 v[49:50], v[12:13], s[44:45]
	v_add_f64 v[47:48], v[47:48], v[53:54]
	v_mul_f64 v[55:56], v[23:24], s[42:43]
	v_add_f64 v[51:52], v[51:52], v[59:60]
	v_fma_f64 v[53:54], v[21:22], s[42:43], v[49:50]
	v_fma_f64 v[49:50], v[21:22], s[42:43], -v[49:50]
	v_fma_f64 v[59:60], v[16:17], s[40:41], v[55:56]
	v_fma_f64 v[55:56], v[16:17], s[44:45], v[55:56]
	v_add_f64 v[53:54], v[53:54], v[63:64]
	v_add_f64 v[49:50], v[49:50], v[57:58]
	v_mul_f64 v[57:58], v[12:13], s[16:17]
	v_add_f64 v[55:56], v[55:56], v[61:62]
	v_mul_f64 v[63:64], v[23:24], s[18:19]
	v_add_f64 v[59:60], v[59:60], v[78:79]
	v_fma_f64 v[61:62], v[21:22], s[18:19], v[57:58]
	v_fma_f64 v[57:58], v[21:22], s[18:19], -v[57:58]
	v_add_f64 v[61:62], v[61:62], v[76:77]
	v_fma_f64 v[76:77], v[16:17], s[24:25], v[63:64]
	v_fma_f64 v[63:64], v[16:17], s[16:17], v[63:64]
	v_add_f64 v[57:58], v[57:58], v[65:66]
	v_mul_f64 v[65:66], v[12:13], s[52:53]
	v_add_f64 v[76:77], v[76:77], v[84:85]
	v_add_f64 v[63:64], v[63:64], v[80:81]
	v_mul_f64 v[80:81], v[23:24], s[54:55]
	v_fma_f64 v[78:79], v[21:22], s[54:55], v[65:66]
	v_fma_f64 v[65:66], v[21:22], s[54:55], -v[65:66]
	v_fma_f64 v[84:85], v[16:17], s[56:57], v[80:81]
	v_fma_f64 v[80:81], v[16:17], s[52:53], v[80:81]
	v_add_f64 v[65:66], v[65:66], v[82:83]
	v_add_f64 v[78:79], v[78:79], v[86:87]
	;; [unrolled: 1-line block ×4, first 2 shown]
	v_mul_f64 v[80:81], v[12:13], s[36:37]
	v_mul_f64 v[88:89], v[23:24], s[28:29]
	;; [unrolled: 1-line block ×4, first 2 shown]
	v_fma_f64 v[86:87], v[21:22], s[28:29], v[80:81]
	v_fma_f64 v[80:81], v[21:22], s[28:29], -v[80:81]
	v_fma_f64 v[92:93], v[16:17], s[2:3], v[88:89]
	v_add_f64 v[86:87], v[86:87], v[94:95]
	v_add_f64 v[90:91], v[80:81], v[90:91]
	v_fma_f64 v[80:81], v[16:17], s[36:37], v[88:89]
	v_add_f64 v[92:93], v[92:93], v[100:101]
	v_add_f64 v[94:95], v[80:81], v[96:97]
	v_fma_f64 v[80:81], v[21:22], s[34:35], v[12:13]
	v_fma_f64 v[12:13], v[21:22], s[34:35], -v[12:13]
	v_mul_f64 v[21:22], v[110:111], s[46:47]
	v_add_f64 v[96:97], v[80:81], v[98:99]
	v_fma_f64 v[80:81], v[16:17], s[38:39], v[23:24]
	v_add_f64 v[100:101], v[12:13], v[0:1]
	v_fma_f64 v[0:1], v[16:17], s[30:31], v[23:24]
	v_mul_f64 v[23:24], v[106:107], s[48:49]
	v_mul_f64 v[12:13], v[110:111], s[24:25]
	v_fma_f64 v[16:17], v[104:105], s[48:49], v[21:22]
	v_fma_f64 v[21:22], v[104:105], s[48:49], -v[21:22]
	v_add_f64 v[98:99], v[80:81], v[102:103]
	v_add_f64 v[102:103], v[0:1], v[2:3]
	v_mul_f64 v[0:1], v[110:111], s[52:53]
	v_fma_f64 v[8:9], v[104:105], s[18:19], v[12:13]
	v_fma_f64 v[12:13], v[104:105], s[18:19], -v[12:13]
	v_add_f64 v[16:17], v[16:17], v[45:46]
	v_add_f64 v[21:22], v[21:22], v[35:36]
	v_fma_f64 v[2:3], v[104:105], s[54:55], v[0:1]
	v_fma_f64 v[0:1], v[104:105], s[54:55], -v[0:1]
	v_add_f64 v[12:13], v[12:13], v[29:30]
	v_mul_f64 v[29:30], v[110:111], s[36:37]
	v_add_f64 v[8:9], v[8:9], v[31:32]
	v_mul_f64 v[31:32], v[106:107], s[28:29]
	v_add_f64 v[4:5], v[2:3], v[18:19]
	v_add_f64 v[0:1], v[0:1], v[14:15]
	v_mul_f64 v[14:15], v[106:107], s[18:19]
	v_fma_f64 v[18:19], v[108:109], s[50:51], v[23:24]
	v_fma_f64 v[23:24], v[108:109], s[46:47], v[23:24]
	v_mul_f64 v[2:3], v[106:107], s[54:55]
	v_fma_f64 v[10:11], v[108:109], s[16:17], v[14:15]
	v_fma_f64 v[14:15], v[108:109], s[24:25], v[14:15]
	v_add_f64 v[23:24], v[23:24], v[47:48]
	v_mul_f64 v[47:48], v[106:107], s[42:43]
	v_fma_f64 v[6:7], v[108:109], s[56:57], v[2:3]
	v_fma_f64 v[2:3], v[108:109], s[52:53], v[2:3]
	v_add_f64 v[18:19], v[18:19], v[51:52]
	v_add_f64 v[10:11], v[10:11], v[37:38]
	v_mul_f64 v[37:38], v[110:111], s[40:41]
	v_add_f64 v[14:15], v[14:15], v[33:34]
	v_fma_f64 v[35:36], v[108:109], s[44:45], v[47:48]
	v_add_f64 v[6:7], v[6:7], v[27:28]
	v_add_f64 v[2:3], v[2:3], v[25:26]
	v_fma_f64 v[25:26], v[104:105], s[28:29], v[29:30]
	v_fma_f64 v[29:30], v[104:105], s[28:29], -v[29:30]
	v_fma_f64 v[27:28], v[108:109], s[2:3], v[31:32]
	v_fma_f64 v[33:34], v[104:105], s[42:43], v[37:38]
	v_fma_f64 v[37:38], v[104:105], s[42:43], -v[37:38]
	v_add_f64 v[35:36], v[35:36], v[76:77]
	v_fma_f64 v[31:32], v[108:109], s[36:37], v[31:32]
	v_add_f64 v[25:26], v[25:26], v[53:54]
	v_add_f64 v[29:30], v[29:30], v[49:50]
	;; [unrolled: 1-line block ×5, first 2 shown]
	v_fma_f64 v[37:38], v[108:109], s[40:41], v[47:48]
	v_add_f64 v[31:32], v[31:32], v[55:56]
	v_add_f64 v[47:48], v[37:38], v[63:64]
	v_mul_f64 v[37:38], v[110:111], s[26:27]
	v_fma_f64 v[49:50], v[104:105], s[20:21], v[37:38]
	v_fma_f64 v[37:38], v[104:105], s[20:21], -v[37:38]
	v_add_f64 v[76:77], v[49:50], v[78:79]
	v_mul_f64 v[49:50], v[106:107], s[20:21]
	v_add_f64 v[80:81], v[37:38], v[65:66]
	v_fma_f64 v[37:38], v[108:109], s[26:27], v[49:50]
	v_fma_f64 v[51:52], v[108:109], s[22:23], v[49:50]
	v_add_f64 v[82:83], v[37:38], v[82:83]
	v_mul_f64 v[37:38], v[110:111], s[30:31]
	v_add_f64 v[78:79], v[51:52], v[84:85]
	v_fma_f64 v[49:50], v[104:105], s[34:35], v[37:38]
	v_fma_f64 v[37:38], v[104:105], s[34:35], -v[37:38]
	v_add_f64 v[84:85], v[49:50], v[86:87]
	v_mul_f64 v[49:50], v[106:107], s[34:35]
	v_add_f64 v[88:89], v[37:38], v[90:91]
	v_fma_f64 v[37:38], v[108:109], s[30:31], v[49:50]
	v_fma_f64 v[51:52], v[108:109], s[38:39], v[49:50]
	v_add_f64 v[90:91], v[37:38], v[94:95]
	v_mul_f64 v[37:38], v[110:111], s[14:15]
	v_add_f64 v[86:87], v[51:52], v[92:93]
	v_fma_f64 v[49:50], v[104:105], s[12:13], v[37:38]
	v_fma_f64 v[37:38], v[104:105], s[12:13], -v[37:38]
	v_add_f64 v[92:93], v[49:50], v[96:97]
	v_mul_f64 v[49:50], v[106:107], s[12:13]
	v_add_f64 v[96:97], v[37:38], v[100:101]
	v_fma_f64 v[51:52], v[108:109], s[6:7], v[49:50]
	v_fma_f64 v[37:38], v[108:109], s[14:15], v[49:50]
	v_add_f64 v[94:95], v[51:52], v[98:99]
	v_add_f64 v[98:99], v[37:38], v[102:103]
	ds_write_b128 v39, v[72:75]
	ds_write_b128 v39, v[4:7] offset:544
	ds_write_b128 v39, v[8:11] offset:1088
	;; [unrolled: 1-line block ×16, first 2 shown]
	s_waitcnt lgkmcnt(0)
	s_barrier
	ds_read_b128 v[80:83], v44
	ds_read_b128 v[108:111], v44 offset:9248
	ds_read_b128 v[84:87], v44 offset:1088
	;; [unrolled: 1-line block ×15, first 2 shown]
	s_and_saveexec_b64 s[2:3], s[0:1]
	s_cbranch_execz .LBB0_15
; %bb.14:
	ds_read_b128 v[0:3], v44 offset:8704
	ds_read_b128 v[68:71], v44 offset:17952
.LBB0_15:
	s_or_b64 exec, exec, s[2:3]
	s_waitcnt lgkmcnt(14)
	v_mul_f64 v[16:17], v[174:175], v[110:111]
	v_mul_f64 v[18:19], v[174:175], v[108:109]
	s_waitcnt lgkmcnt(12)
	v_mul_f64 v[21:22], v[178:179], v[114:115]
	v_mul_f64 v[23:24], v[178:179], v[112:113]
	;; [unrolled: 3-line block ×4, first 2 shown]
	v_fma_f64 v[16:17], v[172:173], v[108:109], v[16:17]
	v_fma_f64 v[18:19], v[172:173], v[110:111], -v[18:19]
	v_fma_f64 v[21:22], v[176:177], v[112:113], v[21:22]
	v_fma_f64 v[23:24], v[176:177], v[114:115], -v[23:24]
	;; [unrolled: 2-line block ×3, first 2 shown]
	s_waitcnt lgkmcnt(6)
	v_mul_f64 v[33:34], v[190:191], v[94:95]
	v_mul_f64 v[35:36], v[190:191], v[92:93]
	s_waitcnt lgkmcnt(4)
	v_mul_f64 v[37:38], v[194:195], v[98:99]
	v_mul_f64 v[45:46], v[194:195], v[96:97]
	;; [unrolled: 3-line block ×4, first 2 shown]
	v_fma_f64 v[29:30], v[184:185], v[120:121], v[29:30]
	v_fma_f64 v[31:32], v[184:185], v[122:123], -v[31:32]
	v_fma_f64 v[55:56], v[188:189], v[92:93], v[33:34]
	v_fma_f64 v[57:58], v[188:189], v[94:95], -v[35:36]
	;; [unrolled: 2-line block ×5, first 2 shown]
	v_add_f64 v[16:17], v[80:81], -v[16:17]
	v_add_f64 v[18:19], v[82:83], -v[18:19]
	;; [unrolled: 1-line block ×8, first 2 shown]
	v_fma_f64 v[33:34], v[80:81], 2.0, -v[16:17]
	v_fma_f64 v[35:36], v[82:83], 2.0, -v[18:19]
	;; [unrolled: 1-line block ×6, first 2 shown]
	v_add_f64 v[84:85], v[8:9], -v[55:56]
	v_add_f64 v[86:87], v[10:11], -v[57:58]
	;; [unrolled: 1-line block ×8, first 2 shown]
	v_fma_f64 v[76:77], v[76:77], 2.0, -v[29:30]
	v_fma_f64 v[78:79], v[78:79], 2.0, -v[31:32]
	v_fma_f64 v[8:9], v[8:9], 2.0, -v[84:85]
	v_fma_f64 v[10:11], v[10:11], 2.0, -v[86:87]
	v_fma_f64 v[12:13], v[12:13], 2.0, -v[88:89]
	v_fma_f64 v[14:15], v[14:15], 2.0, -v[90:91]
	v_fma_f64 v[72:73], v[72:73], 2.0, -v[92:93]
	v_fma_f64 v[74:75], v[74:75], 2.0, -v[94:95]
	v_fma_f64 v[4:5], v[4:5], 2.0, -v[96:97]
	v_fma_f64 v[6:7], v[6:7], 2.0, -v[98:99]
	ds_write_b128 v44, v[33:36]
	ds_write_b128 v40, v[16:19] offset:9248
	ds_write_b128 v44, v[45:48] offset:1088
	;; [unrolled: 1-line block ×15, first 2 shown]
	s_and_saveexec_b64 s[2:3], s[0:1]
	s_cbranch_execz .LBB0_17
; %bb.16:
	buffer_load_dword v8, off, s[60:63], 0 offset:388 ; 4-byte Folded Reload
	buffer_load_dword v9, off, s[60:63], 0 offset:392 ; 4-byte Folded Reload
	;; [unrolled: 1-line block ×4, first 2 shown]
	s_waitcnt vmcnt(0)
	v_mul_f64 v[4:5], v[10:11], v[68:69]
	v_mul_f64 v[6:7], v[10:11], v[70:71]
	v_fma_f64 v[4:5], v[8:9], v[70:71], -v[4:5]
	v_fma_f64 v[8:9], v[8:9], v[68:69], v[6:7]
	v_add_f64 v[6:7], v[2:3], -v[4:5]
	v_add_f64 v[4:5], v[0:1], -v[8:9]
	v_fma_f64 v[2:3], v[2:3], 2.0, -v[6:7]
	v_fma_f64 v[0:1], v[0:1], 2.0, -v[4:5]
	ds_write_b128 v44, v[0:3] offset:8704
	ds_write_b128 v40, v[4:7] offset:17952
.LBB0_17:
	s_or_b64 exec, exec, s[2:3]
	s_waitcnt lgkmcnt(0)
	s_barrier
	ds_read_b128 v[0:3], v44
	ds_read_b128 v[4:7], v44 offset:1088
	buffer_load_dword v21, off, s[60:63], 0 ; 4-byte Folded Reload
	buffer_load_dword v22, off, s[60:63], 0 offset:4 ; 4-byte Folded Reload
	buffer_load_dword v23, off, s[60:63], 0 offset:8 ; 4-byte Folded Reload
	;; [unrolled: 1-line block ×3, first 2 shown]
	v_mad_u64_u32 v[8:9], s[0:1], s10, v20, 0
	s_mul_i32 s2, s9, 0x440
	s_mul_hi_u32 s3, s8, 0x440
	s_add_i32 s2, s3, s2
	s_mul_i32 s3, s8, 0x440
	s_waitcnt vmcnt(0) lgkmcnt(1)
	v_mul_f64 v[10:11], v[23:24], v[2:3]
	v_mul_f64 v[12:13], v[23:24], v[0:1]
	v_mad_u64_u32 v[14:15], s[0:1], s11, v20, v[9:10]
	v_fma_f64 v[0:1], v[21:22], v[0:1], v[10:11]
	v_fma_f64 v[2:3], v[21:22], v[2:3], -v[12:13]
	buffer_load_dword v19, off, s[60:63], 0 offset:256 ; 4-byte Folded Reload
	buffer_load_dword v20, off, s[60:63], 0 offset:260 ; 4-byte Folded Reload
	;; [unrolled: 1-line block ×4, first 2 shown]
	v_mad_u64_u32 v[15:16], s[0:1], s8, v43, 0
	v_mov_b32_e32 v9, v14
	v_lshlrev_b64 v[8:9], 4, v[8:9]
	v_mov_b32_e32 v10, v16
	v_mad_u64_u32 v[10:11], s[0:1], s9, v43, v[10:11]
	s_mov_b32 s0, 0xd10d4986
	s_mov_b32 s1, 0x3f4c5894
	v_mov_b32_e32 v16, v10
	v_mul_f64 v[0:1], v[0:1], s[0:1]
	v_mul_f64 v[2:3], v[2:3], s[0:1]
	v_mov_b32_e32 v14, s5
	v_add_co_u32_e32 v17, vcc, s4, v8
	v_addc_co_u32_e32 v18, vcc, v14, v9, vcc
	v_lshlrev_b64 v[8:9], 4, v[15:16]
	v_add_co_u32_e32 v14, vcc, v17, v8
	v_addc_co_u32_e32 v15, vcc, v18, v9, vcc
	global_store_dwordx4 v[14:15], v[0:3], off
	v_add_co_u32_e32 v14, vcc, s3, v14
	s_waitcnt vmcnt(1) lgkmcnt(0)
	v_mul_f64 v[10:11], v[21:22], v[6:7]
	v_mul_f64 v[12:13], v[21:22], v[4:5]
	v_fma_f64 v[10:11], v[19:20], v[4:5], v[10:11]
	v_fma_f64 v[12:13], v[19:20], v[6:7], -v[12:13]
	ds_read_b128 v[4:7], v44 offset:2176
	v_mov_b32_e32 v20, s2
	v_addc_co_u32_e32 v15, vcc, v15, v20, vcc
	v_mul_f64 v[0:1], v[10:11], s[0:1]
	ds_read_b128 v[8:11], v44 offset:3264
	buffer_load_dword v21, off, s[60:63], 0 offset:240 ; 4-byte Folded Reload
	buffer_load_dword v22, off, s[60:63], 0 offset:244 ; 4-byte Folded Reload
	;; [unrolled: 1-line block ×4, first 2 shown]
	v_mul_f64 v[2:3], v[12:13], s[0:1]
	s_waitcnt vmcnt(0) lgkmcnt(1)
	v_mul_f64 v[16:17], v[23:24], v[6:7]
	v_mul_f64 v[18:19], v[23:24], v[4:5]
	buffer_load_dword v23, off, s[60:63], 0 offset:208 ; 4-byte Folded Reload
	buffer_load_dword v24, off, s[60:63], 0 offset:212 ; 4-byte Folded Reload
	buffer_load_dword v25, off, s[60:63], 0 offset:216 ; 4-byte Folded Reload
	buffer_load_dword v26, off, s[60:63], 0 offset:220 ; 4-byte Folded Reload
	v_fma_f64 v[4:5], v[21:22], v[4:5], v[16:17]
	v_fma_f64 v[6:7], v[21:22], v[6:7], -v[18:19]
	global_store_dwordx4 v[14:15], v[0:3], off
	v_mov_b32_e32 v22, s2
	v_add_co_u32_e32 v14, vcc, s3, v14
	v_addc_co_u32_e32 v15, vcc, v15, v22, vcc
	v_mul_f64 v[0:1], v[4:5], s[0:1]
	v_mul_f64 v[2:3], v[6:7], s[0:1]
	ds_read_b128 v[4:7], v44 offset:4352
	s_waitcnt vmcnt(1) lgkmcnt(1)
	v_mul_f64 v[12:13], v[25:26], v[10:11]
	v_mul_f64 v[16:17], v[25:26], v[8:9]
	v_fma_f64 v[12:13], v[23:24], v[8:9], v[12:13]
	v_fma_f64 v[16:17], v[23:24], v[10:11], -v[16:17]
	ds_read_b128 v[8:11], v44 offset:5440
	buffer_load_dword v23, off, s[60:63], 0 offset:224 ; 4-byte Folded Reload
	buffer_load_dword v24, off, s[60:63], 0 offset:228 ; 4-byte Folded Reload
	;; [unrolled: 1-line block ×4, first 2 shown]
	s_waitcnt vmcnt(0) lgkmcnt(1)
	v_mul_f64 v[18:19], v[25:26], v[6:7]
	v_mul_f64 v[20:21], v[25:26], v[4:5]
	global_store_dwordx4 v[14:15], v[0:3], off
	v_add_co_u32_e32 v14, vcc, s3, v14
	v_mul_f64 v[0:1], v[12:13], s[0:1]
	v_mul_f64 v[2:3], v[16:17], s[0:1]
	v_addc_co_u32_e32 v15, vcc, v15, v22, vcc
	v_fma_f64 v[4:5], v[23:24], v[4:5], v[18:19]
	v_fma_f64 v[6:7], v[23:24], v[6:7], -v[20:21]
	buffer_load_dword v18, off, s[60:63], 0 offset:192 ; 4-byte Folded Reload
	buffer_load_dword v19, off, s[60:63], 0 offset:196 ; 4-byte Folded Reload
	buffer_load_dword v20, off, s[60:63], 0 offset:200 ; 4-byte Folded Reload
	buffer_load_dword v21, off, s[60:63], 0 offset:204 ; 4-byte Folded Reload
	s_waitcnt vmcnt(0) lgkmcnt(0)
	v_mul_f64 v[12:13], v[20:21], v[10:11]
	v_mul_f64 v[16:17], v[20:21], v[8:9]
	global_store_dwordx4 v[14:15], v[0:3], off
	v_add_co_u32_e32 v14, vcc, s3, v14
	v_mul_f64 v[0:1], v[4:5], s[0:1]
	v_mul_f64 v[2:3], v[6:7], s[0:1]
	ds_read_b128 v[4:7], v44 offset:6528
	v_fma_f64 v[12:13], v[18:19], v[8:9], v[12:13]
	v_fma_f64 v[16:17], v[18:19], v[10:11], -v[16:17]
	ds_read_b128 v[8:11], v44 offset:7616
	buffer_load_dword v23, off, s[60:63], 0 offset:128 ; 4-byte Folded Reload
	buffer_load_dword v24, off, s[60:63], 0 offset:132 ; 4-byte Folded Reload
	buffer_load_dword v25, off, s[60:63], 0 offset:136 ; 4-byte Folded Reload
	buffer_load_dword v26, off, s[60:63], 0 offset:140 ; 4-byte Folded Reload
	v_addc_co_u32_e32 v15, vcc, v15, v22, vcc
	global_store_dwordx4 v[14:15], v[0:3], off
	v_add_co_u32_e32 v14, vcc, s3, v14
	v_mul_f64 v[0:1], v[12:13], s[0:1]
	v_mul_f64 v[2:3], v[16:17], s[0:1]
	v_addc_co_u32_e32 v15, vcc, v15, v22, vcc
	s_waitcnt vmcnt(1) lgkmcnt(1)
	v_mul_f64 v[18:19], v[25:26], v[6:7]
	v_mul_f64 v[20:21], v[25:26], v[4:5]
	v_fma_f64 v[4:5], v[23:24], v[4:5], v[18:19]
	v_fma_f64 v[6:7], v[23:24], v[6:7], -v[20:21]
	buffer_load_dword v18, off, s[60:63], 0 offset:32 ; 4-byte Folded Reload
	buffer_load_dword v19, off, s[60:63], 0 offset:36 ; 4-byte Folded Reload
	buffer_load_dword v20, off, s[60:63], 0 offset:40 ; 4-byte Folded Reload
	buffer_load_dword v21, off, s[60:63], 0 offset:44 ; 4-byte Folded Reload
	s_waitcnt vmcnt(0) lgkmcnt(0)
	v_mul_f64 v[12:13], v[20:21], v[10:11]
	v_mul_f64 v[16:17], v[20:21], v[8:9]
	global_store_dwordx4 v[14:15], v[0:3], off
	v_add_co_u32_e32 v14, vcc, s3, v14
	v_mul_f64 v[0:1], v[4:5], s[0:1]
	v_mul_f64 v[2:3], v[6:7], s[0:1]
	ds_read_b128 v[4:7], v44 offset:8704
	v_fma_f64 v[12:13], v[18:19], v[8:9], v[12:13]
	v_fma_f64 v[16:17], v[18:19], v[10:11], -v[16:17]
	ds_read_b128 v[8:11], v44 offset:9792
	buffer_load_dword v23, off, s[60:63], 0 offset:176 ; 4-byte Folded Reload
	buffer_load_dword v24, off, s[60:63], 0 offset:180 ; 4-byte Folded Reload
	buffer_load_dword v25, off, s[60:63], 0 offset:184 ; 4-byte Folded Reload
	buffer_load_dword v26, off, s[60:63], 0 offset:188 ; 4-byte Folded Reload
	v_addc_co_u32_e32 v15, vcc, v15, v22, vcc
	global_store_dwordx4 v[14:15], v[0:3], off
	v_add_co_u32_e32 v14, vcc, s3, v14
	v_mul_f64 v[0:1], v[12:13], s[0:1]
	v_mul_f64 v[2:3], v[16:17], s[0:1]
	v_addc_co_u32_e32 v15, vcc, v15, v22, vcc
	s_waitcnt vmcnt(1) lgkmcnt(1)
	v_mul_f64 v[18:19], v[25:26], v[6:7]
	v_mul_f64 v[20:21], v[25:26], v[4:5]
	;; [unrolled: 30-line block ×5, first 2 shown]
	v_fma_f64 v[12:13], v[23:24], v[4:5], v[18:19]
	v_fma_f64 v[16:17], v[23:24], v[6:7], -v[20:21]
	ds_read_b128 v[4:7], v44 offset:17408
	buffer_load_dword v26, off, s[60:63], 0 offset:16 ; 4-byte Folded Reload
	buffer_load_dword v27, off, s[60:63], 0 offset:20 ; 4-byte Folded Reload
	;; [unrolled: 1-line block ×4, first 2 shown]
	s_waitcnt vmcnt(0) lgkmcnt(1)
	v_mul_f64 v[18:19], v[28:29], v[10:11]
	v_mul_f64 v[20:21], v[28:29], v[8:9]
	buffer_load_dword v28, off, s[60:63], 0 offset:96 ; 4-byte Folded Reload
	buffer_load_dword v29, off, s[60:63], 0 offset:100 ; 4-byte Folded Reload
	;; [unrolled: 1-line block ×4, first 2 shown]
	v_fma_f64 v[8:9], v[26:27], v[8:9], v[18:19]
	global_store_dwordx4 v[14:15], v[0:3], off
	v_fma_f64 v[10:11], v[26:27], v[10:11], -v[20:21]
	v_mul_f64 v[0:1], v[12:13], s[0:1]
	v_mul_f64 v[2:3], v[16:17], s[0:1]
	v_mov_b32_e32 v13, s2
	v_add_co_u32_e32 v12, vcc, s3, v14
	v_addc_co_u32_e32 v13, vcc, v15, v13, vcc
	global_store_dwordx4 v[12:13], v[0:3], off
	s_nop 0
	v_mul_f64 v[0:1], v[8:9], s[0:1]
	v_mul_f64 v[2:3], v[10:11], s[0:1]
	v_mov_b32_e32 v9, s2
	v_add_co_u32_e32 v8, vcc, s3, v12
	v_addc_co_u32_e32 v9, vcc, v13, v9, vcc
	global_store_dwordx4 v[8:9], v[0:3], off
	s_nop 0
	v_mov_b32_e32 v1, s2
	v_add_co_u32_e32 v0, vcc, s3, v8
	v_addc_co_u32_e32 v1, vcc, v9, v1, vcc
	s_waitcnt vmcnt(3) lgkmcnt(0)
	v_mul_f64 v[22:23], v[30:31], v[6:7]
	v_mul_f64 v[24:25], v[30:31], v[4:5]
	v_fma_f64 v[4:5], v[28:29], v[4:5], v[22:23]
	v_fma_f64 v[6:7], v[28:29], v[6:7], -v[24:25]
	v_mul_f64 v[4:5], v[4:5], s[0:1]
	v_mul_f64 v[6:7], v[6:7], s[0:1]
	global_store_dwordx4 v[0:1], v[4:7], off
.LBB0_18:
	s_endpgm
	.section	.rodata,"a",@progbits
	.p2align	6, 0x0
	.amdhsa_kernel bluestein_single_fwd_len1156_dim1_dp_op_CI_CI
		.amdhsa_group_segment_fixed_size 55488
		.amdhsa_private_segment_fixed_size 408
		.amdhsa_kernarg_size 104
		.amdhsa_user_sgpr_count 6
		.amdhsa_user_sgpr_private_segment_buffer 1
		.amdhsa_user_sgpr_dispatch_ptr 0
		.amdhsa_user_sgpr_queue_ptr 0
		.amdhsa_user_sgpr_kernarg_segment_ptr 1
		.amdhsa_user_sgpr_dispatch_id 0
		.amdhsa_user_sgpr_flat_scratch_init 0
		.amdhsa_user_sgpr_private_segment_size 0
		.amdhsa_uses_dynamic_stack 0
		.amdhsa_system_sgpr_private_segment_wavefront_offset 1
		.amdhsa_system_sgpr_workgroup_id_x 1
		.amdhsa_system_sgpr_workgroup_id_y 0
		.amdhsa_system_sgpr_workgroup_id_z 0
		.amdhsa_system_sgpr_workgroup_info 0
		.amdhsa_system_vgpr_workitem_id 0
		.amdhsa_next_free_vgpr 256
		.amdhsa_next_free_sgpr 64
		.amdhsa_reserve_vcc 1
		.amdhsa_reserve_flat_scratch 0
		.amdhsa_float_round_mode_32 0
		.amdhsa_float_round_mode_16_64 0
		.amdhsa_float_denorm_mode_32 3
		.amdhsa_float_denorm_mode_16_64 3
		.amdhsa_dx10_clamp 1
		.amdhsa_ieee_mode 1
		.amdhsa_fp16_overflow 0
		.amdhsa_exception_fp_ieee_invalid_op 0
		.amdhsa_exception_fp_denorm_src 0
		.amdhsa_exception_fp_ieee_div_zero 0
		.amdhsa_exception_fp_ieee_overflow 0
		.amdhsa_exception_fp_ieee_underflow 0
		.amdhsa_exception_fp_ieee_inexact 0
		.amdhsa_exception_int_div_zero 0
	.end_amdhsa_kernel
	.text
.Lfunc_end0:
	.size	bluestein_single_fwd_len1156_dim1_dp_op_CI_CI, .Lfunc_end0-bluestein_single_fwd_len1156_dim1_dp_op_CI_CI
                                        ; -- End function
	.section	.AMDGPU.csdata,"",@progbits
; Kernel info:
; codeLenInByte = 36696
; NumSgprs: 68
; NumVgprs: 256
; ScratchSize: 408
; MemoryBound: 0
; FloatMode: 240
; IeeeMode: 1
; LDSByteSize: 55488 bytes/workgroup (compile time only)
; SGPRBlocks: 8
; VGPRBlocks: 63
; NumSGPRsForWavesPerEU: 68
; NumVGPRsForWavesPerEU: 256
; Occupancy: 1
; WaveLimiterHint : 1
; COMPUTE_PGM_RSRC2:SCRATCH_EN: 1
; COMPUTE_PGM_RSRC2:USER_SGPR: 6
; COMPUTE_PGM_RSRC2:TRAP_HANDLER: 0
; COMPUTE_PGM_RSRC2:TGID_X_EN: 1
; COMPUTE_PGM_RSRC2:TGID_Y_EN: 0
; COMPUTE_PGM_RSRC2:TGID_Z_EN: 0
; COMPUTE_PGM_RSRC2:TIDIG_COMP_CNT: 0
	.type	__hip_cuid_727f2b4cadf675fc,@object ; @__hip_cuid_727f2b4cadf675fc
	.section	.bss,"aw",@nobits
	.globl	__hip_cuid_727f2b4cadf675fc
__hip_cuid_727f2b4cadf675fc:
	.byte	0                               ; 0x0
	.size	__hip_cuid_727f2b4cadf675fc, 1

	.ident	"AMD clang version 19.0.0git (https://github.com/RadeonOpenCompute/llvm-project roc-6.4.0 25133 c7fe45cf4b819c5991fe208aaa96edf142730f1d)"
	.section	".note.GNU-stack","",@progbits
	.addrsig
	.addrsig_sym __hip_cuid_727f2b4cadf675fc
	.amdgpu_metadata
---
amdhsa.kernels:
  - .args:
      - .actual_access:  read_only
        .address_space:  global
        .offset:         0
        .size:           8
        .value_kind:     global_buffer
      - .actual_access:  read_only
        .address_space:  global
        .offset:         8
        .size:           8
        .value_kind:     global_buffer
      - .actual_access:  read_only
        .address_space:  global
        .offset:         16
        .size:           8
        .value_kind:     global_buffer
      - .actual_access:  read_only
        .address_space:  global
        .offset:         24
        .size:           8
        .value_kind:     global_buffer
      - .actual_access:  read_only
        .address_space:  global
        .offset:         32
        .size:           8
        .value_kind:     global_buffer
      - .offset:         40
        .size:           8
        .value_kind:     by_value
      - .address_space:  global
        .offset:         48
        .size:           8
        .value_kind:     global_buffer
      - .address_space:  global
        .offset:         56
        .size:           8
        .value_kind:     global_buffer
      - .address_space:  global
        .offset:         64
        .size:           8
        .value_kind:     global_buffer
      - .address_space:  global
        .offset:         72
        .size:           8
        .value_kind:     global_buffer
      - .offset:         80
        .size:           4
        .value_kind:     by_value
      - .address_space:  global
        .offset:         88
        .size:           8
        .value_kind:     global_buffer
      - .address_space:  global
        .offset:         96
        .size:           8
        .value_kind:     global_buffer
    .group_segment_fixed_size: 55488
    .kernarg_segment_align: 8
    .kernarg_segment_size: 104
    .language:       OpenCL C
    .language_version:
      - 2
      - 0
    .max_flat_workgroup_size: 204
    .name:           bluestein_single_fwd_len1156_dim1_dp_op_CI_CI
    .private_segment_fixed_size: 408
    .sgpr_count:     68
    .sgpr_spill_count: 0
    .symbol:         bluestein_single_fwd_len1156_dim1_dp_op_CI_CI.kd
    .uniform_work_group_size: 1
    .uses_dynamic_stack: false
    .vgpr_count:     256
    .vgpr_spill_count: 101
    .wavefront_size: 64
amdhsa.target:   amdgcn-amd-amdhsa--gfx906
amdhsa.version:
  - 1
  - 2
...

	.end_amdgpu_metadata
